;; amdgpu-corpus repo=ROCm/rocFFT kind=compiled arch=gfx906 opt=O3
	.text
	.amdgcn_target "amdgcn-amd-amdhsa--gfx906"
	.amdhsa_code_object_version 6
	.protected	bluestein_single_fwd_len507_dim1_dp_op_CI_CI ; -- Begin function bluestein_single_fwd_len507_dim1_dp_op_CI_CI
	.globl	bluestein_single_fwd_len507_dim1_dp_op_CI_CI
	.p2align	8
	.type	bluestein_single_fwd_len507_dim1_dp_op_CI_CI,@function
bluestein_single_fwd_len507_dim1_dp_op_CI_CI: ; @bluestein_single_fwd_len507_dim1_dp_op_CI_CI
; %bb.0:
	v_mul_u32_u24_e32 v1, 0x691, v0
	s_mov_b64 s[50:51], s[2:3]
	s_load_dwordx4 s[16:19], s[4:5], 0x28
	v_lshrrev_b32_e32 v1, 16, v1
	s_mov_b64 s[48:49], s[0:1]
	v_mad_u64_u32 v[200:201], s[0:1], s6, 3, v[1:2]
	v_mov_b32_e32 v201, 0
	s_add_u32 s48, s48, s7
	s_waitcnt lgkmcnt(0)
	v_cmp_gt_u64_e32 vcc, s[16:17], v[200:201]
	s_addc_u32 s49, s49, 0
	s_and_saveexec_b64 s[0:1], vcc
	s_cbranch_execz .LBB0_10
; %bb.1:
	s_load_dwordx4 s[0:3], s[4:5], 0x18
	s_load_dwordx4 s[12:15], s[4:5], 0x0
	v_mul_lo_u16_e32 v1, 39, v1
	v_sub_u16_e32 v209, v0, v1
	v_lshlrev_b32_e32 v120, 4, v209
	s_waitcnt lgkmcnt(0)
	s_load_dwordx4 s[8:11], s[0:1], 0x0
	s_mov_b32 s21, 0xbfddbe06
	s_mov_b32 s20, 0x4267c47c
	;; [unrolled: 1-line block ×4, first 2 shown]
	s_waitcnt lgkmcnt(0)
	v_mad_u64_u32 v[0:1], s[0:1], s10, v200, 0
	v_mad_u64_u32 v[2:3], s[0:1], s8, v209, 0
	s_mul_i32 s6, s9, 0x270
	s_mul_hi_u32 s7, s8, 0x270
	v_mad_u64_u32 v[4:5], s[0:1], s11, v200, v[1:2]
	s_add_i32 s6, s7, s6
	s_mul_i32 s7, s8, 0x270
	v_mad_u64_u32 v[5:6], s[0:1], s9, v209, v[3:4]
	v_mov_b32_e32 v1, v4
	v_lshlrev_b64 v[0:1], 4, v[0:1]
	v_mov_b32_e32 v3, v5
	v_mov_b32_e32 v6, s19
	v_lshlrev_b64 v[2:3], 4, v[2:3]
	v_add_co_u32_e32 v0, vcc, s18, v0
	v_addc_co_u32_e32 v1, vcc, v6, v1, vcc
	v_add_co_u32_e32 v0, vcc, v0, v2
	v_addc_co_u32_e32 v1, vcc, v1, v3, vcc
	global_load_dwordx4 v[52:55], v[0:1], off
	v_mov_b32_e32 v2, s13
	v_add_co_u32_e64 v218, s[0:1], s12, v120
	v_addc_co_u32_e64 v8, vcc, 0, v2, s[0:1]
	global_load_dwordx4 v[48:51], v120, s[12:13]
	global_load_dwordx4 v[28:31], v120, s[12:13] offset:624
	v_mov_b32_e32 v2, s6
	v_add_co_u32_e32 v0, vcc, s7, v0
	v_addc_co_u32_e32 v1, vcc, v1, v2, vcc
	v_mov_b32_e32 v3, s6
	v_add_co_u32_e32 v2, vcc, s7, v0
	v_addc_co_u32_e32 v3, vcc, v1, v3, vcc
	global_load_dwordx4 v[56:59], v[0:1], off
	global_load_dwordx4 v[60:63], v[2:3], off
	v_mov_b32_e32 v1, s6
	v_add_co_u32_e32 v0, vcc, s7, v2
	v_addc_co_u32_e32 v1, vcc, v3, v1, vcc
	v_mov_b32_e32 v3, s6
	v_add_co_u32_e32 v2, vcc, s7, v0
	v_addc_co_u32_e32 v3, vcc, v1, v3, vcc
	global_load_dwordx4 v[36:39], v120, s[12:13] offset:1248
	global_load_dwordx4 v[20:23], v120, s[12:13] offset:1872
	global_load_dwordx4 v[64:67], v[0:1], off
	global_load_dwordx4 v[68:71], v[2:3], off
	v_mov_b32_e32 v1, s6
	v_add_co_u32_e32 v0, vcc, s7, v2
	v_addc_co_u32_e32 v1, vcc, v3, v1, vcc
	global_load_dwordx4 v[72:75], v[0:1], off
	global_load_dwordx4 v[44:47], v120, s[12:13] offset:2496
	global_load_dwordx4 v[12:15], v120, s[12:13] offset:3120
	v_mov_b32_e32 v2, s6
	v_add_co_u32_e32 v0, vcc, s7, v0
	v_addc_co_u32_e32 v1, vcc, v1, v2, vcc
	global_load_dwordx4 v[76:79], v[0:1], off
	global_load_dwordx4 v[4:7], v120, s[12:13] offset:3744
	v_add_co_u32_e32 v0, vcc, s7, v0
	v_addc_co_u32_e32 v1, vcc, v1, v2, vcc
	s_movk_i32 s8, 0x1000
	v_add_co_u32_e32 v104, vcc, s8, v218
	v_addc_co_u32_e32 v105, vcc, 0, v8, vcc
	global_load_dwordx4 v[80:83], v[0:1], off
	v_add_co_u32_e32 v0, vcc, s7, v0
	v_addc_co_u32_e32 v1, vcc, v1, v2, vcc
	global_load_dwordx4 v[84:87], v[0:1], off
	global_load_dwordx4 v[40:43], v[104:105], off offset:272
	global_load_dwordx4 v[8:11], v[104:105], off offset:896
	v_add_co_u32_e32 v0, vcc, s7, v0
	v_addc_co_u32_e32 v1, vcc, v1, v2, vcc
	v_add_co_u32_e32 v16, vcc, s7, v0
	v_addc_co_u32_e32 v17, vcc, v1, v2, vcc
	global_load_dwordx4 v[88:91], v[0:1], off
	global_load_dwordx4 v[92:95], v[16:17], off
	global_load_dwordx4 v[32:35], v[104:105], off offset:1520
	s_nop 0
	global_load_dwordx4 v[0:3], v[104:105], off offset:2144
	v_mov_b32_e32 v18, s6
	v_add_co_u32_e32 v16, vcc, s7, v16
	v_addc_co_u32_e32 v17, vcc, v17, v18, vcc
	global_load_dwordx4 v[96:99], v[16:17], off
	v_add_co_u32_e32 v106, vcc, s7, v16
	v_addc_co_u32_e32 v107, vcc, v17, v18, vcc
	global_load_dwordx4 v[16:19], v[104:105], off offset:2768
	global_load_dwordx4 v[100:103], v[106:107], off
	global_load_dwordx4 v[24:27], v[104:105], off offset:3392
	s_mov_b32 s6, 0xaaaaaaab
	v_mul_hi_u32 v108, v200, s6
	s_load_dwordx4 s[8:11], s[2:3], 0x0
	s_mov_b32 s28, 0x42a4c3d2
	s_mov_b32 s38, 0x66966769
	v_lshrrev_b32_e32 v108, 1, v108
	v_lshl_add_u32 v108, v108, 1, v108
	s_waitcnt vmcnt(24)
	v_mul_f64 v[104:105], v[54:55], v[50:51]
	v_mul_f64 v[106:107], v[52:53], v[50:51]
	v_sub_u32_e32 v121, v200, v108
	s_mov_b32 s22, 0x2ef20147
	s_mov_b32 s26, 0x24c2f84
	s_mov_b32 s36, 0x4bc48dbf
	s_mov_b32 s29, 0xbfea55e2
	s_mov_b32 s39, 0xbfefc445
	v_fma_f64 v[52:53], v[52:53], v[48:49], v[104:105]
	v_fma_f64 v[54:55], v[54:55], v[48:49], -v[106:107]
	s_mov_b32 s23, 0xbfedeba7
	s_waitcnt vmcnt(22)
	v_mul_f64 v[104:105], v[58:59], v[30:31]
	v_mul_f64 v[106:107], v[56:57], v[30:31]
	s_mov_b32 s27, 0xbfe5384d
	s_mov_b32 s37, 0xbfcea1e5
	s_load_dwordx2 s[2:3], s[4:5], 0x38
	s_mov_b32 s6, 0x1ea71119
	s_mov_b32 s4, 0xebaa3ed8
	;; [unrolled: 1-line block ×3, first 2 shown]
	v_fma_f64 v[56:57], v[56:57], v[28:29], v[104:105]
	v_fma_f64 v[58:59], v[58:59], v[28:29], -v[106:107]
	v_mul_u32_u24_e32 v104, 0x1fb, v121
	s_waitcnt vmcnt(20)
	v_mul_f64 v[108:109], v[62:63], v[38:39]
	v_mul_f64 v[110:111], v[60:61], v[38:39]
	s_waitcnt vmcnt(18)
	v_mul_f64 v[112:113], v[66:67], v[22:23]
	v_mul_f64 v[114:115], v[64:65], v[22:23]
	v_lshlrev_b32_e32 v164, 4, v104
	v_add_u32_e32 v210, v120, v164
	s_mov_b32 s24, 0xd0032e0c
	s_waitcnt vmcnt(15)
	v_mul_f64 v[116:117], v[70:71], v[46:47]
	v_mul_f64 v[118:119], v[68:69], v[46:47]
	v_fma_f64 v[60:61], v[60:61], v[36:37], v[108:109]
	v_fma_f64 v[62:63], v[62:63], v[36:37], -v[110:111]
	v_fma_f64 v[64:65], v[64:65], v[20:21], v[112:113]
	v_fma_f64 v[66:67], v[66:67], v[20:21], -v[114:115]
	s_mov_b32 s34, 0x93053d00
	s_mov_b32 s7, 0x3fe22d96
	v_fma_f64 v[68:69], v[68:69], v[44:45], v[116:117]
	v_fma_f64 v[70:71], v[70:71], v[44:45], -v[118:119]
	ds_write_b128 v210, v[52:55]
	ds_write_b128 v210, v[56:59] offset:624
	ds_write_b128 v210, v[60:63] offset:1248
	;; [unrolled: 1-line block ×4, first 2 shown]
	s_waitcnt vmcnt(14)
	v_mul_f64 v[52:53], v[74:75], v[14:15]
	v_mul_f64 v[54:55], v[72:73], v[14:15]
	s_waitcnt vmcnt(12)
	v_mul_f64 v[56:57], v[78:79], v[6:7]
	v_mul_f64 v[58:59], v[76:77], v[6:7]
	s_mov_b32 s5, 0x3fbedb7d
	s_mov_b32 s19, 0xbfd6b1d8
	s_mov_b32 s25, 0xbfe7f3cc
	s_waitcnt vmcnt(9)
	v_mul_f64 v[60:61], v[82:83], v[42:43]
	v_mul_f64 v[62:63], v[80:81], v[42:43]
	s_waitcnt vmcnt(8)
	v_mul_f64 v[64:65], v[86:87], v[10:11]
	v_mul_f64 v[66:67], v[84:85], v[10:11]
	v_fma_f64 v[52:53], v[72:73], v[12:13], v[52:53]
	v_fma_f64 v[54:55], v[74:75], v[12:13], -v[54:55]
	v_fma_f64 v[56:57], v[76:77], v[4:5], v[56:57]
	v_fma_f64 v[58:59], v[78:79], v[4:5], -v[58:59]
	;; [unrolled: 2-line block ×3, first 2 shown]
	s_waitcnt vmcnt(5)
	v_mul_f64 v[68:69], v[90:91], v[34:35]
	v_mul_f64 v[70:71], v[88:89], v[34:35]
	s_waitcnt vmcnt(4)
	v_mul_f64 v[72:73], v[94:95], v[2:3]
	v_mul_f64 v[74:75], v[92:93], v[2:3]
	v_fma_f64 v[64:65], v[84:85], v[8:9], v[64:65]
	v_fma_f64 v[66:67], v[86:87], v[8:9], -v[66:67]
	s_mov_b32 s35, 0xbfef11f4
	s_mov_b32 s41, 0x3fe5384d
	v_fma_f64 v[68:69], v[88:89], v[32:33], v[68:69]
	v_fma_f64 v[70:71], v[90:91], v[32:33], -v[70:71]
	s_waitcnt vmcnt(2)
	v_mul_f64 v[76:77], v[98:99], v[18:19]
	v_mul_f64 v[78:79], v[96:97], v[18:19]
	s_waitcnt vmcnt(0)
	v_mul_f64 v[80:81], v[102:103], v[26:27]
	v_mul_f64 v[82:83], v[100:101], v[26:27]
	v_fma_f64 v[72:73], v[92:93], v[0:1], v[72:73]
	v_fma_f64 v[74:75], v[94:95], v[0:1], -v[74:75]
	s_mov_b32 s40, s26
	s_mov_b32 s31, 0x3fefc445
	v_fma_f64 v[76:77], v[96:97], v[16:17], v[76:77]
	v_fma_f64 v[78:79], v[98:99], v[16:17], -v[78:79]
	v_fma_f64 v[80:81], v[100:101], v[24:25], v[80:81]
	v_fma_f64 v[82:83], v[102:103], v[24:25], -v[82:83]
	ds_write_b128 v210, v[52:55] offset:3120
	ds_write_b128 v210, v[56:59] offset:3744
	;; [unrolled: 1-line block ×8, first 2 shown]
	s_waitcnt lgkmcnt(0)
	s_barrier
	ds_read_b128 v[72:75], v210
	ds_read_b128 v[52:55], v210 offset:624
	ds_read_b128 v[76:79], v210 offset:1248
	;; [unrolled: 1-line block ×5, first 2 shown]
	s_waitcnt lgkmcnt(4)
	v_add_f64 v[56:57], v[72:73], v[52:53]
	v_add_f64 v[58:59], v[74:75], v[54:55]
	s_mov_b32 s30, s38
	s_mov_b32 s43, 0x3fedeba7
	;; [unrolled: 1-line block ×3, first 2 shown]
	v_cmp_gt_u16_e32 vcc, 13, v209
	s_waitcnt lgkmcnt(3)
	v_add_f64 v[56:57], v[56:57], v[76:77]
	v_add_f64 v[58:59], v[58:59], v[78:79]
	s_waitcnt lgkmcnt(2)
	v_add_f64 v[56:57], v[56:57], v[80:81]
	v_add_f64 v[58:59], v[58:59], v[82:83]
	;; [unrolled: 3-line block ×4, first 2 shown]
	ds_read_b128 v[56:59], v210 offset:3744
	s_waitcnt lgkmcnt(0)
	v_add_f64 v[68:69], v[60:61], v[56:57]
	v_add_f64 v[70:71], v[62:63], v[58:59]
	ds_read_b128 v[60:63], v210 offset:4368
	s_waitcnt lgkmcnt(0)
	v_add_f64 v[88:89], v[68:69], v[60:61]
	v_add_f64 v[90:91], v[70:71], v[62:63]
	;; [unrolled: 4-line block ×3, first 2 shown]
	ds_read_b128 v[88:91], v210 offset:5616
	ds_read_b128 v[92:95], v210 offset:7488
	s_waitcnt lgkmcnt(0)
	v_add_f64 v[108:109], v[54:55], -v[94:95]
	v_add_f64 v[104:105], v[96:97], v[88:89]
	v_add_f64 v[106:107], v[98:99], v[90:91]
	v_add_f64 v[110:111], v[52:53], -v[92:93]
	ds_read_b128 v[96:99], v210 offset:6240
	ds_read_b128 v[100:103], v210 offset:6864
	v_add_f64 v[112:113], v[52:53], v[92:93]
	v_add_f64 v[114:115], v[54:55], v[94:95]
	s_waitcnt lgkmcnt(0)
	v_mul_f64 v[116:117], v[108:109], s[20:21]
	v_add_f64 v[104:105], v[104:105], v[96:97]
	v_add_f64 v[106:107], v[106:107], v[98:99]
	v_mul_f64 v[118:119], v[110:111], s[20:21]
	v_mul_f64 v[120:121], v[108:109], s[38:39]
	;; [unrolled: 1-line block ×6, first 2 shown]
	v_add_f64 v[52:53], v[104:105], v[100:101]
	v_add_f64 v[54:55], v[106:107], v[102:103]
	v_fma_f64 v[104:105], v[112:113], s[16:17], -v[116:117]
	v_fma_f64 v[106:107], v[114:115], s[16:17], v[118:119]
	v_mul_f64 v[138:139], v[110:111], s[26:27]
	v_add_f64 v[148:149], v[78:79], -v[102:103]
	v_add_f64 v[150:151], v[76:77], -v[100:101]
	v_fma_f64 v[128:129], v[112:113], s[4:5], -v[120:121]
	v_add_f64 v[52:53], v[52:53], v[92:93]
	v_add_f64 v[54:55], v[54:55], v[94:95]
	;; [unrolled: 1-line block ×4, first 2 shown]
	v_fma_f64 v[104:105], v[112:113], s[16:17], v[116:117]
	v_fma_f64 v[106:107], v[114:115], s[16:17], -v[118:119]
	v_mul_f64 v[116:117], v[108:109], s[28:29]
	v_mul_f64 v[118:119], v[110:111], s[28:29]
	;; [unrolled: 1-line block ×4, first 2 shown]
	v_fma_f64 v[130:131], v[114:115], s[4:5], v[122:123]
	v_fma_f64 v[120:121], v[112:113], s[4:5], v[120:121]
	v_fma_f64 v[122:123], v[114:115], s[4:5], -v[122:123]
	v_fma_f64 v[140:141], v[112:113], s[18:19], -v[132:133]
	;; [unrolled: 1-line block ×3, first 2 shown]
	v_fma_f64 v[126:127], v[114:115], s[6:7], v[118:119]
	v_fma_f64 v[116:117], v[112:113], s[6:7], v[116:117]
	v_fma_f64 v[118:119], v[114:115], s[6:7], -v[118:119]
	v_fma_f64 v[142:143], v[114:115], s[18:19], v[134:135]
	v_fma_f64 v[132:133], v[112:113], s[18:19], v[132:133]
	v_fma_f64 v[134:135], v[114:115], s[18:19], -v[134:135]
	v_fma_f64 v[144:145], v[112:113], s[24:25], -v[136:137]
	v_fma_f64 v[146:147], v[114:115], s[24:25], v[138:139]
	v_fma_f64 v[136:137], v[112:113], s[24:25], v[136:137]
	v_fma_f64 v[138:139], v[114:115], s[24:25], -v[138:139]
	v_add_f64 v[76:77], v[76:77], v[100:101]
	v_add_f64 v[78:79], v[78:79], v[102:103]
	v_mul_f64 v[100:101], v[148:149], s[28:29]
	v_mul_f64 v[102:103], v[150:151], s[28:29]
	v_fma_f64 v[152:153], v[112:113], s[34:35], -v[108:109]
	v_fma_f64 v[154:155], v[114:115], s[34:35], v[110:111]
	v_fma_f64 v[108:109], v[112:113], s[34:35], v[108:109]
	v_fma_f64 v[110:111], v[114:115], s[34:35], -v[110:111]
	v_add_f64 v[104:105], v[72:73], v[104:105]
	v_add_f64 v[106:107], v[74:75], v[106:107]
	;; [unrolled: 1-line block ×18, first 2 shown]
	v_fma_f64 v[136:137], v[76:77], s[6:7], -v[100:101]
	v_fma_f64 v[138:139], v[78:79], s[6:7], v[102:103]
	v_add_f64 v[152:153], v[72:73], v[152:153]
	v_add_f64 v[154:155], v[74:75], v[154:155]
	;; [unrolled: 1-line block ×4, first 2 shown]
	v_mul_f64 v[108:109], v[148:149], s[22:23]
	v_mul_f64 v[110:111], v[150:151], s[22:23]
	v_add_f64 v[92:93], v[136:137], v[92:93]
	v_add_f64 v[94:95], v[138:139], v[94:95]
	v_mul_f64 v[136:137], v[148:149], s[36:37]
	v_mul_f64 v[138:139], v[150:151], s[36:37]
	v_fma_f64 v[100:101], v[76:77], s[6:7], v[100:101]
	v_fma_f64 v[102:103], v[78:79], s[6:7], -v[102:103]
	v_fma_f64 v[156:157], v[76:77], s[18:19], -v[108:109]
	v_fma_f64 v[158:159], v[78:79], s[18:19], v[110:111]
	v_fma_f64 v[108:109], v[76:77], s[18:19], v[108:109]
	v_fma_f64 v[110:111], v[78:79], s[18:19], -v[110:111]
	v_fma_f64 v[160:161], v[76:77], s[34:35], -v[136:137]
	v_fma_f64 v[162:163], v[78:79], s[34:35], v[138:139]
	v_add_f64 v[100:101], v[100:101], v[104:105]
	v_add_f64 v[102:103], v[102:103], v[106:107]
	v_add_f64 v[104:105], v[156:157], v[124:125]
	v_add_f64 v[106:107], v[158:159], v[126:127]
	v_mul_f64 v[124:125], v[148:149], s[40:41]
	v_mul_f64 v[126:127], v[150:151], s[40:41]
	v_add_f64 v[108:109], v[108:109], v[116:117]
	v_add_f64 v[110:111], v[110:111], v[118:119]
	;; [unrolled: 1-line block ×4, first 2 shown]
	v_mul_f64 v[128:129], v[148:149], s[30:31]
	v_fma_f64 v[130:131], v[76:77], s[34:35], v[136:137]
	v_fma_f64 v[136:137], v[78:79], s[34:35], -v[138:139]
	v_mul_f64 v[138:139], v[150:151], s[30:31]
	v_fma_f64 v[156:157], v[76:77], s[24:25], -v[124:125]
	v_fma_f64 v[158:159], v[78:79], s[24:25], v[126:127]
	v_fma_f64 v[126:127], v[78:79], s[24:25], -v[126:127]
	v_fma_f64 v[124:125], v[76:77], s[24:25], v[124:125]
	v_fma_f64 v[160:161], v[76:77], s[4:5], -v[128:129]
	v_add_f64 v[120:121], v[130:131], v[120:121]
	v_add_f64 v[122:123], v[136:137], v[122:123]
	v_fma_f64 v[130:131], v[78:79], s[4:5], v[138:139]
	v_add_f64 v[136:137], v[156:157], v[140:141]
	v_add_f64 v[140:141], v[158:159], v[142:143]
	;; [unrolled: 1-line block ×3, first 2 shown]
	v_add_f64 v[134:135], v[82:83], -v[98:99]
	v_add_f64 v[142:143], v[80:81], -v[96:97]
	s_mov_b32 s21, 0x3fddbe06
	v_add_f64 v[124:125], v[124:125], v[132:133]
	v_add_f64 v[132:133], v[160:161], v[144:145]
	;; [unrolled: 1-line block ×3, first 2 shown]
	v_mul_f64 v[144:145], v[148:149], s[20:21]
	v_mul_f64 v[146:147], v[150:151], s[20:21]
	v_add_f64 v[80:81], v[80:81], v[96:97]
	v_add_f64 v[82:83], v[82:83], v[98:99]
	v_mul_f64 v[96:97], v[134:135], s[38:39]
	v_mul_f64 v[98:99], v[142:143], s[38:39]
	v_fma_f64 v[128:129], v[76:77], s[4:5], v[128:129]
	v_fma_f64 v[138:139], v[78:79], s[4:5], -v[138:139]
	v_fma_f64 v[148:149], v[76:77], s[16:17], -v[144:145]
	v_fma_f64 v[150:151], v[78:79], s[16:17], v[146:147]
	v_fma_f64 v[76:77], v[76:77], s[16:17], v[144:145]
	v_fma_f64 v[78:79], v[78:79], s[16:17], -v[146:147]
	v_fma_f64 v[144:145], v[80:81], s[4:5], -v[96:97]
	v_fma_f64 v[146:147], v[82:83], s[4:5], v[98:99]
	v_fma_f64 v[96:97], v[80:81], s[4:5], v[96:97]
	v_fma_f64 v[98:99], v[82:83], s[4:5], -v[98:99]
	v_add_f64 v[112:113], v[128:129], v[112:113]
	v_add_f64 v[128:129], v[148:149], v[152:153]
	;; [unrolled: 1-line block ×6, first 2 shown]
	v_mul_f64 v[92:93], v[134:135], s[36:37]
	v_mul_f64 v[144:145], v[134:135], s[42:43]
	;; [unrolled: 1-line block ×4, first 2 shown]
	v_add_f64 v[96:97], v[96:97], v[100:101]
	v_add_f64 v[98:99], v[98:99], v[102:103]
	;; [unrolled: 1-line block ×4, first 2 shown]
	v_fma_f64 v[148:149], v[80:81], s[34:35], -v[92:93]
	v_fma_f64 v[92:93], v[80:81], s[34:35], v[92:93]
	v_fma_f64 v[100:101], v[80:81], s[18:19], -v[144:145]
	v_fma_f64 v[102:103], v[82:83], s[18:19], v[146:147]
	v_fma_f64 v[150:151], v[82:83], s[34:35], v[94:95]
	v_fma_f64 v[94:95], v[82:83], s[34:35], -v[94:95]
	s_barrier
	v_add_f64 v[104:105], v[148:149], v[104:105]
	v_add_f64 v[92:93], v[92:93], v[108:109]
	v_mul_f64 v[108:109], v[134:135], s[20:21]
	v_add_f64 v[100:101], v[100:101], v[116:117]
	v_add_f64 v[102:103], v[102:103], v[118:119]
	v_fma_f64 v[116:117], v[80:81], s[18:19], v[144:145]
	v_fma_f64 v[118:119], v[82:83], s[18:19], -v[146:147]
	v_mul_f64 v[144:145], v[134:135], s[28:29]
	v_mul_f64 v[146:147], v[142:143], s[28:29]
	v_add_f64 v[94:95], v[94:95], v[110:111]
	v_mul_f64 v[110:111], v[142:143], s[20:21]
	v_fma_f64 v[148:149], v[80:81], s[16:17], -v[108:109]
	v_fma_f64 v[108:109], v[80:81], s[16:17], v[108:109]
	v_add_f64 v[116:117], v[116:117], v[120:121]
	v_add_f64 v[118:119], v[118:119], v[122:123]
	v_fma_f64 v[120:121], v[80:81], s[6:7], -v[144:145]
	v_fma_f64 v[122:123], v[82:83], s[6:7], v[146:147]
	v_add_f64 v[106:107], v[150:151], v[106:107]
	v_fma_f64 v[150:151], v[82:83], s[16:17], v[110:111]
	v_fma_f64 v[110:111], v[82:83], s[16:17], -v[110:111]
	v_add_f64 v[108:109], v[108:109], v[124:125]
	v_mul_f64 v[124:125], v[134:135], s[26:27]
	v_fma_f64 v[134:135], v[80:81], s[6:7], v[144:145]
	v_add_f64 v[120:121], v[120:121], v[132:133]
	v_add_f64 v[122:123], v[122:123], v[130:131]
	v_add_f64 v[130:131], v[86:87], -v[90:91]
	v_add_f64 v[132:133], v[84:85], -v[88:89]
	v_add_f64 v[110:111], v[110:111], v[126:127]
	v_mul_f64 v[126:127], v[142:143], s[26:27]
	v_fma_f64 v[144:145], v[80:81], s[24:25], -v[124:125]
	v_add_f64 v[84:85], v[84:85], v[88:89]
	v_add_f64 v[86:87], v[86:87], v[90:91]
	v_fma_f64 v[142:143], v[82:83], s[6:7], -v[146:147]
	v_mul_f64 v[88:89], v[130:131], s[22:23]
	v_mul_f64 v[90:91], v[132:133], s[22:23]
	v_fma_f64 v[80:81], v[80:81], s[24:25], v[124:125]
	v_fma_f64 v[146:147], v[82:83], s[24:25], v[126:127]
	v_fma_f64 v[82:83], v[82:83], s[24:25], -v[126:127]
	v_add_f64 v[112:113], v[134:135], v[112:113]
	v_add_f64 v[124:125], v[144:145], v[128:129]
	v_add_f64 v[114:115], v[142:143], v[114:115]
	v_fma_f64 v[128:129], v[84:85], s[18:19], -v[88:89]
	v_fma_f64 v[134:135], v[86:87], s[18:19], v[90:91]
	v_add_f64 v[72:73], v[80:81], v[72:73]
	v_mul_f64 v[80:81], v[130:131], s[40:41]
	v_add_f64 v[74:75], v[82:83], v[74:75]
	v_mul_f64 v[82:83], v[132:133], s[40:41]
	v_fma_f64 v[88:89], v[84:85], s[18:19], v[88:89]
	v_fma_f64 v[90:91], v[86:87], s[18:19], -v[90:91]
	v_add_f64 v[76:77], v[128:129], v[76:77]
	v_add_f64 v[78:79], v[134:135], v[78:79]
	v_mul_f64 v[128:129], v[130:131], s[20:21]
	v_mul_f64 v[134:135], v[132:133], s[20:21]
	v_add_f64 v[126:127], v[146:147], v[138:139]
	v_fma_f64 v[138:139], v[84:85], s[24:25], -v[80:81]
	v_fma_f64 v[142:143], v[86:87], s[24:25], v[82:83]
	v_add_f64 v[88:89], v[88:89], v[96:97]
	v_add_f64 v[90:91], v[90:91], v[98:99]
	v_fma_f64 v[80:81], v[84:85], s[24:25], v[80:81]
	v_fma_f64 v[82:83], v[86:87], s[24:25], -v[82:83]
	v_fma_f64 v[96:97], v[84:85], s[16:17], -v[128:129]
	v_fma_f64 v[98:99], v[86:87], s[16:17], v[134:135]
	s_mov_b32 s41, 0x3fcea1e5
	s_mov_b32 s40, s36
	v_add_f64 v[104:105], v[138:139], v[104:105]
	v_mul_f64 v[138:139], v[130:131], s[38:39]
	v_add_f64 v[80:81], v[80:81], v[92:93]
	v_add_f64 v[82:83], v[82:83], v[94:95]
	;; [unrolled: 1-line block ×4, first 2 shown]
	v_fma_f64 v[96:97], v[84:85], s[16:17], v[128:129]
	v_fma_f64 v[98:99], v[86:87], s[16:17], -v[134:135]
	v_mul_f64 v[128:129], v[130:131], s[40:41]
	v_mul_f64 v[134:135], v[132:133], s[40:41]
	v_add_f64 v[106:107], v[142:143], v[106:107]
	v_mul_f64 v[142:143], v[132:133], s[38:39]
	s_mov_b32 s39, 0x3fea55e2
	s_mov_b32 s38, s28
	v_add_f64 v[96:97], v[96:97], v[116:117]
	v_add_f64 v[98:99], v[98:99], v[118:119]
	v_fma_f64 v[116:117], v[84:85], s[34:35], -v[128:129]
	v_fma_f64 v[118:119], v[86:87], s[34:35], v[134:135]
	v_add_f64 v[136:137], v[148:149], v[136:137]
	v_fma_f64 v[100:101], v[84:85], s[4:5], -v[138:139]
	v_fma_f64 v[138:139], v[84:85], s[4:5], v[138:139]
	v_mul_f64 v[130:131], v[130:131], s[38:39]
	v_mul_f64 v[132:133], v[132:133], s[38:39]
	v_fma_f64 v[102:103], v[86:87], s[4:5], v[142:143]
	v_add_f64 v[116:117], v[116:117], v[120:121]
	v_add_f64 v[118:119], v[118:119], v[122:123]
	v_add_f64 v[120:121], v[66:67], -v[70:71]
	v_add_f64 v[122:123], v[64:65], -v[68:69]
	v_fma_f64 v[142:143], v[86:87], s[4:5], -v[142:143]
	v_add_f64 v[100:101], v[100:101], v[136:137]
	v_add_f64 v[108:109], v[138:139], v[108:109]
	v_fma_f64 v[128:129], v[84:85], s[34:35], v[128:129]
	v_fma_f64 v[134:135], v[86:87], s[34:35], -v[134:135]
	v_fma_f64 v[136:137], v[84:85], s[6:7], -v[130:131]
	v_fma_f64 v[138:139], v[86:87], s[6:7], v[132:133]
	v_add_f64 v[64:65], v[64:65], v[68:69]
	v_add_f64 v[66:67], v[66:67], v[70:71]
	v_mul_f64 v[68:69], v[120:121], s[26:27]
	v_mul_f64 v[70:71], v[122:123], s[26:27]
	v_fma_f64 v[84:85], v[84:85], s[6:7], v[130:131]
	v_fma_f64 v[86:87], v[86:87], s[6:7], -v[132:133]
	v_add_f64 v[112:113], v[128:129], v[112:113]
	v_add_f64 v[114:115], v[134:135], v[114:115]
	;; [unrolled: 1-line block ×4, first 2 shown]
	v_fma_f64 v[128:129], v[64:65], s[24:25], -v[68:69]
	v_fma_f64 v[130:131], v[66:67], s[24:25], v[70:71]
	v_add_f64 v[72:73], v[84:85], v[72:73]
	v_add_f64 v[74:75], v[86:87], v[74:75]
	v_mul_f64 v[84:85], v[120:121], s[30:31]
	v_mul_f64 v[86:87], v[122:123], s[30:31]
	v_fma_f64 v[68:69], v[64:65], s[24:25], v[68:69]
	v_fma_f64 v[70:71], v[66:67], s[24:25], -v[70:71]
	v_add_f64 v[76:77], v[128:129], v[76:77]
	v_add_f64 v[78:79], v[130:131], v[78:79]
	v_mul_f64 v[128:129], v[120:121], s[28:29]
	v_mul_f64 v[130:131], v[122:123], s[28:29]
	v_fma_f64 v[132:133], v[64:65], s[4:5], -v[84:85]
	v_fma_f64 v[134:135], v[66:67], s[4:5], v[86:87]
	v_add_f64 v[68:69], v[68:69], v[88:89]
	v_add_f64 v[70:71], v[70:71], v[90:91]
	v_fma_f64 v[84:85], v[64:65], s[4:5], v[84:85]
	v_fma_f64 v[86:87], v[66:67], s[4:5], -v[86:87]
	v_fma_f64 v[88:89], v[64:65], s[6:7], -v[128:129]
	v_fma_f64 v[90:91], v[66:67], s[6:7], v[130:131]
	v_add_f64 v[104:105], v[132:133], v[104:105]
	v_add_f64 v[106:107], v[134:135], v[106:107]
	v_mul_f64 v[132:133], v[120:121], s[40:41]
	v_mul_f64 v[134:135], v[122:123], s[40:41]
	v_add_f64 v[102:103], v[102:103], v[140:141]
	v_add_f64 v[80:81], v[84:85], v[80:81]
	;; [unrolled: 1-line block ×5, first 2 shown]
	v_fma_f64 v[88:89], v[64:65], s[6:7], v[128:129]
	v_fma_f64 v[90:91], v[66:67], s[6:7], -v[130:131]
	v_fma_f64 v[92:93], v[64:65], s[34:35], -v[132:133]
	v_fma_f64 v[94:95], v[66:67], s[34:35], v[134:135]
	v_mul_f64 v[128:129], v[120:121], s[20:21]
	v_mul_f64 v[130:131], v[122:123], s[20:21]
	v_fma_f64 v[132:133], v[64:65], s[34:35], v[132:133]
	v_fma_f64 v[134:135], v[66:67], s[34:35], -v[134:135]
	v_add_f64 v[88:89], v[88:89], v[96:97]
	v_add_f64 v[90:91], v[90:91], v[98:99]
	;; [unrolled: 1-line block ×4, first 2 shown]
	v_fma_f64 v[92:93], v[64:65], s[16:17], -v[128:129]
	v_fma_f64 v[94:95], v[66:67], s[16:17], v[130:131]
	v_add_f64 v[100:101], v[132:133], v[108:109]
	v_add_f64 v[102:103], v[134:135], v[110:111]
	v_fma_f64 v[108:109], v[64:65], s[16:17], v[128:129]
	v_fma_f64 v[110:111], v[66:67], s[16:17], -v[130:131]
	v_mul_f64 v[120:121], v[120:121], s[22:23]
	v_mul_f64 v[122:123], v[122:123], s[22:23]
	v_add_f64 v[128:129], v[58:59], -v[62:63]
	v_add_f64 v[130:131], v[56:57], -v[60:61]
	v_add_f64 v[124:125], v[136:137], v[124:125]
	v_add_f64 v[126:127], v[138:139], v[126:127]
	;; [unrolled: 1-line block ×6, first 2 shown]
	v_fma_f64 v[92:93], v[64:65], s[18:19], -v[120:121]
	v_fma_f64 v[94:95], v[66:67], s[18:19], v[122:123]
	v_add_f64 v[112:113], v[56:57], v[60:61]
	v_add_f64 v[114:115], v[58:59], v[62:63]
	v_mul_f64 v[56:57], v[128:129], s[36:37]
	v_mul_f64 v[58:59], v[130:131], s[36:37]
	v_fma_f64 v[60:61], v[64:65], s[18:19], v[120:121]
	v_fma_f64 v[62:63], v[66:67], s[18:19], -v[122:123]
	v_add_f64 v[120:121], v[92:93], v[124:125]
	v_add_f64 v[122:123], v[94:95], v[126:127]
	v_mul_f64 v[64:65], v[128:129], s[20:21]
	v_mul_f64 v[66:67], v[130:131], s[20:21]
	v_fma_f64 v[92:93], v[112:113], s[34:35], -v[56:57]
	v_fma_f64 v[94:95], v[114:115], s[34:35], v[58:59]
	v_add_f64 v[124:125], v[60:61], v[72:73]
	v_add_f64 v[126:127], v[62:63], v[74:75]
	v_fma_f64 v[60:61], v[112:113], s[34:35], v[56:57]
	v_fma_f64 v[62:63], v[114:115], s[34:35], -v[58:59]
	v_fma_f64 v[72:73], v[112:113], s[16:17], -v[64:65]
	v_fma_f64 v[74:75], v[114:115], s[16:17], v[66:67]
	v_add_f64 v[56:57], v[92:93], v[76:77]
	v_add_f64 v[58:59], v[94:95], v[78:79]
	v_mul_f64 v[76:77], v[128:129], s[26:27]
	v_mul_f64 v[78:79], v[130:131], s[26:27]
	v_add_f64 v[92:93], v[60:61], v[68:69]
	v_add_f64 v[94:95], v[62:63], v[70:71]
	;; [unrolled: 1-line block ×4, first 2 shown]
	v_mul_f64 v[104:105], v[128:129], s[38:39]
	v_mul_f64 v[106:107], v[130:131], s[38:39]
	v_fma_f64 v[68:69], v[112:113], s[24:25], -v[76:77]
	v_fma_f64 v[70:71], v[114:115], s[24:25], v[78:79]
	v_fma_f64 v[72:73], v[112:113], s[24:25], v[76:77]
	v_fma_f64 v[74:75], v[114:115], s[24:25], -v[78:79]
	v_fma_f64 v[64:65], v[112:113], s[16:17], v[64:65]
	v_fma_f64 v[66:67], v[114:115], s[16:17], -v[66:67]
	v_fma_f64 v[76:77], v[112:113], s[6:7], -v[104:105]
	v_fma_f64 v[78:79], v[114:115], s[6:7], v[106:107]
	v_add_f64 v[68:69], v[68:69], v[84:85]
	v_add_f64 v[70:71], v[70:71], v[86:87]
	v_mul_f64 v[84:85], v[128:129], s[22:23]
	v_mul_f64 v[86:87], v[130:131], s[22:23]
	v_add_f64 v[72:73], v[72:73], v[88:89]
	v_add_f64 v[74:75], v[74:75], v[90:91]
	v_mul_f64 v[88:89], v[128:129], s[30:31]
	v_mul_f64 v[90:91], v[130:131], s[30:31]
	v_add_f64 v[64:65], v[64:65], v[80:81]
	v_add_f64 v[66:67], v[66:67], v[82:83]
	v_fma_f64 v[80:81], v[112:113], s[6:7], v[104:105]
	v_fma_f64 v[82:83], v[114:115], s[6:7], -v[106:107]
	v_add_f64 v[76:77], v[76:77], v[96:97]
	v_add_f64 v[78:79], v[78:79], v[98:99]
	v_fma_f64 v[96:97], v[112:113], s[18:19], -v[84:85]
	v_fma_f64 v[98:99], v[114:115], s[18:19], v[86:87]
	v_fma_f64 v[104:105], v[112:113], s[4:5], -v[88:89]
	v_fma_f64 v[106:107], v[114:115], s[4:5], v[90:91]
	v_add_f64 v[80:81], v[80:81], v[100:101]
	v_add_f64 v[82:83], v[82:83], v[102:103]
	v_fma_f64 v[100:101], v[112:113], s[18:19], v[84:85]
	v_fma_f64 v[102:103], v[114:115], s[18:19], -v[86:87]
	v_fma_f64 v[112:113], v[112:113], s[4:5], v[88:89]
	v_fma_f64 v[114:115], v[114:115], s[4:5], -v[90:91]
	v_add_f64 v[84:85], v[96:97], v[116:117]
	v_add_f64 v[86:87], v[98:99], v[118:119]
	;; [unrolled: 1-line block ×4, first 2 shown]
	v_mul_lo_u16_e32 v104, 13, v209
	v_add_f64 v[88:89], v[100:101], v[108:109]
	v_add_f64 v[90:91], v[102:103], v[110:111]
	;; [unrolled: 1-line block ×4, first 2 shown]
	v_lshl_add_u32 v213, v104, 4, v164
	buffer_store_dword v164, off, s[48:51], 0 ; 4-byte Folded Spill
	ds_write_b128 v213, v[52:55]
	ds_write_b128 v213, v[56:59] offset:16
	ds_write_b128 v213, v[60:63] offset:32
	ds_write_b128 v213, v[68:71] offset:48
	ds_write_b128 v213, v[76:79] offset:64
	ds_write_b128 v213, v[84:87] offset:80
	ds_write_b128 v213, v[96:99] offset:96
	ds_write_b128 v213, v[100:103] offset:112
	ds_write_b128 v213, v[88:91] offset:128
	ds_write_b128 v213, v[80:83] offset:144
	ds_write_b128 v213, v[72:75] offset:160
	ds_write_b128 v213, v[64:67] offset:176
	ds_write_b128 v213, v[92:95] offset:192
	s_waitcnt vmcnt(0) lgkmcnt(0)
	s_barrier
	ds_read_b128 v[108:111], v210
	ds_read_b128 v[104:107], v210 offset:624
	ds_read_b128 v[128:131], v210 offset:2704
	;; [unrolled: 1-line block ×11, first 2 shown]
                                        ; implicit-def: $vgpr144_vgpr145
                                        ; implicit-def: $vgpr148_vgpr149
	s_and_saveexec_b64 s[4:5], vcc
	s_cbranch_execz .LBB0_3
; %bb.2:
	ds_read_b128 v[92:95], v210 offset:2496
	ds_read_b128 v[144:147], v210 offset:5200
	;; [unrolled: 1-line block ×3, first 2 shown]
.LBB0_3:
	s_or_b64 exec, exec, s[4:5]
	s_movk_i32 s4, 0x4f
	v_mul_lo_u16_sdwa v52, v209, s4 dst_sel:DWORD dst_unused:UNUSED_PAD src0_sel:BYTE_0 src1_sel:DWORD
	v_lshrrev_b16_e32 v192, 10, v52
	v_mul_lo_u16_e32 v52, 13, v192
	v_sub_u16_e32 v193, v209, v52
	v_mov_b32_e32 v52, 5
	v_lshlrev_b32_sdwa v53, v52, v193 dst_sel:DWORD dst_unused:UNUSED_PAD src0_sel:DWORD src1_sel:BYTE_0
	global_load_dwordx4 v[60:63], v53, s[14:15] offset:16
	global_load_dwordx4 v[64:67], v53, s[14:15]
	v_add_u16_e32 v53, 39, v209
	v_mul_lo_u16_sdwa v54, v53, s4 dst_sel:DWORD dst_unused:UNUSED_PAD src0_sel:BYTE_0 src1_sel:DWORD
	v_lshrrev_b16_e32 v194, 10, v54
	v_mul_lo_u16_e32 v54, 13, v194
	v_sub_u16_e32 v195, v53, v54
	v_lshlrev_b32_sdwa v53, v52, v195 dst_sel:DWORD dst_unused:UNUSED_PAD src0_sel:DWORD src1_sel:BYTE_0
	global_load_dwordx4 v[68:71], v53, s[14:15] offset:16
	global_load_dwordx4 v[72:75], v53, s[14:15]
	v_add_u16_e32 v53, 0x4e, v209
	v_mul_lo_u16_sdwa v54, v53, s4 dst_sel:DWORD dst_unused:UNUSED_PAD src0_sel:BYTE_0 src1_sel:DWORD
	v_lshrrev_b16_e32 v196, 10, v54
	v_mul_lo_u16_e32 v54, 13, v196
	v_sub_u16_e32 v197, v53, v54
	;; [unrolled: 8-line block ×4, first 2 shown]
	buffer_store_dword v52, off, s[48:51], 0 offset:4 ; 4-byte Folded Spill
	v_lshlrev_b16_e32 v52, 1, v52
	v_and_b32_e32 v52, 0xfe, v52
	v_lshlrev_b32_e32 v52, 4, v52
	global_load_dwordx4 v[56:59], v52, s[14:15]
	s_nop 0
	global_load_dwordx4 v[52:55], v52, s[14:15] offset:16
	s_mov_b32 s4, 0xe8584caa
	s_mov_b32 s5, 0x3febb67a
	s_mov_b32 s7, 0xbfebb67a
	s_mov_b32 s6, s4
	s_waitcnt vmcnt(0) lgkmcnt(0)
	s_barrier
	v_mul_f64 v[156:157], v[134:135], v[62:63]
	v_mul_f64 v[152:153], v[130:131], v[66:67]
	;; [unrolled: 1-line block ×8, first 2 shown]
	v_fma_f64 v[128:129], v[128:129], v[64:65], -v[152:153]
	v_fma_f64 v[132:133], v[132:133], v[60:61], -v[156:157]
	v_fma_f64 v[130:131], v[130:131], v[64:65], v[154:155]
	v_mul_f64 v[172:173], v[142:143], v[78:79]
	v_mul_f64 v[168:169], v[138:139], v[82:83]
	;; [unrolled: 1-line block ×4, first 2 shown]
	v_fma_f64 v[152:153], v[112:113], v[72:73], -v[160:161]
	v_fma_f64 v[156:157], v[116:117], v[68:69], -v[164:165]
	v_fma_f64 v[134:135], v[134:135], v[60:61], v[158:159]
	v_mul_f64 v[180:181], v[126:127], v[86:87]
	v_mul_f64 v[176:177], v[122:123], v[90:91]
	;; [unrolled: 1-line block ×4, first 2 shown]
	v_fma_f64 v[154:155], v[114:115], v[72:73], v[162:163]
	v_fma_f64 v[158:159], v[118:119], v[68:69], v[166:167]
	v_fma_f64 v[136:137], v[136:137], v[80:81], -v[168:169]
	v_fma_f64 v[138:139], v[138:139], v[80:81], v[170:171]
	v_fma_f64 v[140:141], v[140:141], v[76:77], -v[172:173]
	v_fma_f64 v[142:143], v[142:143], v[76:77], v[174:175]
	v_mul_f64 v[186:187], v[144:145], v[58:59]
	v_mul_f64 v[184:185], v[146:147], v[58:59]
	;; [unrolled: 1-line block ×4, first 2 shown]
	v_fma_f64 v[160:161], v[120:121], v[88:89], -v[176:177]
	v_fma_f64 v[162:163], v[122:123], v[88:89], v[178:179]
	v_add_f64 v[120:121], v[108:109], v[128:129]
	v_add_f64 v[122:123], v[128:129], v[132:133]
	v_fma_f64 v[118:119], v[146:147], v[56:57], v[186:187]
	v_add_f64 v[146:147], v[152:153], v[156:157]
	v_fma_f64 v[164:165], v[124:125], v[84:85], -v[180:181]
	v_fma_f64 v[166:167], v[126:127], v[84:85], v[182:183]
	v_fma_f64 v[112:113], v[144:145], v[56:57], -v[184:185]
	v_fma_f64 v[114:115], v[148:149], v[52:53], -v[188:189]
	v_fma_f64 v[116:117], v[150:151], v[52:53], v[190:191]
	v_add_f64 v[126:127], v[130:131], -v[134:135]
	v_add_f64 v[124:125], v[110:111], v[130:131]
	v_add_f64 v[130:131], v[130:131], v[134:135]
	v_add_f64 v[144:145], v[128:129], -v[132:133]
	v_add_f64 v[128:129], v[104:105], v[152:153]
	v_add_f64 v[148:149], v[154:155], -v[158:159]
	v_add_f64 v[150:151], v[106:107], v[154:155]
	v_add_f64 v[154:155], v[154:155], v[158:159]
	;; [unrolled: 1-line block ×5, first 2 shown]
	v_fma_f64 v[132:133], v[122:123], -0.5, v[108:109]
	v_fma_f64 v[104:105], v[146:147], -0.5, v[104:105]
	v_add_f64 v[152:153], v[152:153], -v[156:157]
	v_add_f64 v[168:169], v[100:101], v[136:137]
	v_add_f64 v[172:173], v[138:139], -v[142:143]
	v_add_f64 v[122:123], v[124:125], v[134:135]
	v_fma_f64 v[130:131], v[130:131], -0.5, v[110:111]
	v_add_f64 v[108:109], v[128:129], v[156:157]
	v_add_f64 v[110:111], v[150:151], v[158:159]
	v_fma_f64 v[106:107], v[154:155], -0.5, v[106:107]
	v_fma_f64 v[146:147], v[170:171], -0.5, v[100:101]
	v_fma_f64 v[124:125], v[126:127], s[4:5], v[132:133]
	v_fma_f64 v[128:129], v[126:127], s[6:7], v[132:133]
	;; [unrolled: 1-line block ×4, first 2 shown]
	v_add_f64 v[104:105], v[102:103], v[138:139]
	v_fma_f64 v[148:149], v[174:175], -0.5, v[102:103]
	v_add_f64 v[150:151], v[136:137], -v[140:141]
	v_fma_f64 v[126:127], v[144:145], s[6:7], v[130:131]
	v_fma_f64 v[130:131], v[144:145], s[4:5], v[130:131]
	;; [unrolled: 1-line block ×4, first 2 shown]
	v_add_f64 v[136:137], v[168:169], v[140:141]
	v_fma_f64 v[140:141], v[172:173], s[4:5], v[146:147]
	v_fma_f64 v[144:145], v[172:173], s[6:7], v[146:147]
	v_add_f64 v[152:153], v[160:161], v[164:165]
	v_add_f64 v[138:139], v[104:105], v[142:143]
	v_fma_f64 v[142:143], v[150:151], s[6:7], v[148:149]
	v_add_f64 v[104:105], v[162:163], v[166:167]
	v_fma_f64 v[146:147], v[150:151], s[4:5], v[148:149]
	v_add_f64 v[150:151], v[112:113], v[114:115]
	v_add_f64 v[106:107], v[96:97], v[160:161]
	v_add_f64 v[154:155], v[162:163], -v[166:167]
	v_fma_f64 v[96:97], v[152:153], -0.5, v[96:97]
	v_add_f64 v[158:159], v[98:99], v[162:163]
	v_add_f64 v[162:163], v[118:119], -v[116:117]
	v_fma_f64 v[98:99], v[104:105], -0.5, v[98:99]
	v_add_f64 v[104:105], v[160:161], -v[164:165]
	v_fma_f64 v[160:161], v[150:151], -0.5, v[92:93]
	v_add_f64 v[148:149], v[106:107], v[164:165]
	v_add_f64 v[106:107], v[118:119], v[116:117]
	v_fma_f64 v[152:153], v[154:155], s[4:5], v[96:97]
	v_fma_f64 v[156:157], v[154:155], s[6:7], v[96:97]
	v_add_f64 v[150:151], v[158:159], v[166:167]
	v_add_f64 v[164:165], v[112:113], -v[114:115]
	v_fma_f64 v[154:155], v[104:105], s[6:7], v[98:99]
	v_fma_f64 v[158:159], v[104:105], s[4:5], v[98:99]
	;; [unrolled: 1-line block ×4, first 2 shown]
	buffer_load_dword v161, off, s[48:51], 0 ; 4-byte Folded Reload
	v_fma_f64 v[106:107], v[106:107], -0.5, v[94:95]
	v_mul_u32_u24_e32 v160, 39, v192
	v_add_u32_sdwa v160, v160, v193 dst_sel:DWORD dst_unused:UNUSED_PAD src0_sel:DWORD src1_sel:BYTE_0
	v_fma_f64 v[98:99], v[164:165], s[6:7], v[106:107]
	v_fma_f64 v[106:107], v[164:165], s[4:5], v[106:107]
	s_waitcnt vmcnt(0)
	v_lshl_add_u32 v160, v160, 4, v161
	ds_write_b128 v160, v[120:123]
	ds_write_b128 v160, v[124:127] offset:208
	v_mul_u32_u24_e32 v120, 39, v194
	v_add_u32_sdwa v120, v120, v195 dst_sel:DWORD dst_unused:UNUSED_PAD src0_sel:DWORD src1_sel:BYTE_0
	v_lshl_add_u32 v120, v120, 4, v161
	buffer_store_dword v160, off, s[48:51], 0 offset:8 ; 4-byte Folded Spill
	ds_write_b128 v160, v[128:131] offset:416
	ds_write_b128 v120, v[108:111]
	ds_write_b128 v120, v[132:135] offset:208
	ds_write_b128 v120, v[100:103] offset:416
	v_mul_u32_u24_e32 v100, 39, v196
	v_add_u32_sdwa v100, v100, v197 dst_sel:DWORD dst_unused:UNUSED_PAD src0_sel:DWORD src1_sel:BYTE_0
	v_lshl_add_u32 v216, v100, 4, v161
	v_mul_u32_u24_e32 v100, 39, v198
	v_add_u32_sdwa v100, v100, v199 dst_sel:DWORD dst_unused:UNUSED_PAD src0_sel:DWORD src1_sel:BYTE_0
	v_lshl_add_u32 v217, v100, 4, v161
	buffer_store_dword v120, off, s[48:51], 0 offset:12 ; 4-byte Folded Spill
	ds_write_b128 v216, v[136:139]
	ds_write_b128 v216, v[140:143] offset:208
	ds_write_b128 v216, v[144:147] offset:416
	ds_write_b128 v217, v[148:151]
	ds_write_b128 v217, v[152:155] offset:208
	ds_write_b128 v217, v[156:159] offset:416
	s_and_saveexec_b64 s[4:5], vcc
	s_cbranch_execz .LBB0_5
; %bb.4:
	buffer_load_dword v100, off, s[48:51], 0 offset:4 ; 4-byte Folded Reload
	buffer_load_dword v101, off, s[48:51], 0 ; 4-byte Folded Reload
	v_add_f64 v[94:95], v[94:95], v[118:119]
	v_add_f64 v[92:93], v[92:93], v[112:113]
	;; [unrolled: 1-line block ×4, first 2 shown]
	s_waitcnt vmcnt(1)
	v_and_b32_e32 v100, 0xff, v100
	s_waitcnt vmcnt(0)
	v_lshl_add_u32 v100, v100, 4, v101
	ds_write_b128 v100, v[96:99] offset:7696
	ds_write_b128 v100, v[92:95] offset:7488
	;; [unrolled: 1-line block ×3, first 2 shown]
.LBB0_5:
	s_or_b64 exec, exec, s[4:5]
	v_mov_b32_e32 v92, s13
	v_addc_co_u32_e64 v219, s[0:1], 0, v92, s[0:1]
	v_mov_b32_e32 v109, s15
	s_movk_i32 s0, 0xc0
	v_mov_b32_e32 v108, s14
	v_mad_u64_u32 v[176:177], s[0:1], v209, s0, v[108:109]
	s_waitcnt vmcnt(0) lgkmcnt(0)
	s_barrier
	ds_read_b128 v[152:155], v210
	ds_read_b128 v[92:95], v210 offset:624
	ds_read_b128 v[100:103], v210 offset:1248
	;; [unrolled: 1-line block ×12, first 2 shown]
	global_load_dwordx4 v[108:111], v[176:177], off offset:464
	global_load_dwordx4 v[116:119], v[176:177], off offset:448
	;; [unrolled: 1-line block ×4, first 2 shown]
	s_mov_b32 s20, 0x4267c47c
	s_mov_b32 s21, 0xbfddbe06
	;; [unrolled: 1-line block ×34, first 2 shown]
	s_movk_i32 s0, 0x1fb0
	s_waitcnt vmcnt(0) lgkmcnt(11)
	v_mul_f64 v[140:141], v[94:95], v[138:139]
	v_fma_f64 v[205:206], v[92:93], v[136:137], -v[140:141]
	v_mul_f64 v[92:93], v[92:93], v[138:139]
	v_fma_f64 v[207:208], v[94:95], v[136:137], v[92:93]
	s_waitcnt lgkmcnt(10)
	v_mul_f64 v[92:93], v[102:103], v[126:127]
	v_fma_f64 v[188:189], v[100:101], v[124:125], -v[92:93]
	v_mul_f64 v[92:93], v[100:101], v[126:127]
	v_fma_f64 v[190:191], v[102:103], v[124:125], v[92:93]
	s_waitcnt lgkmcnt(9)
	;; [unrolled: 5-line block ×3, first 2 shown]
	v_mul_f64 v[92:93], v[122:123], v[110:111]
	v_fma_f64 v[174:175], v[120:121], v[108:109], -v[92:93]
	v_mul_f64 v[92:93], v[120:121], v[110:111]
	v_fma_f64 v[172:173], v[122:123], v[108:109], v[92:93]
	global_load_dwordx4 v[92:95], v[176:177], off offset:528
	global_load_dwordx4 v[100:103], v[176:177], off offset:512
	;; [unrolled: 1-line block ×4, first 2 shown]
	s_waitcnt vmcnt(0) lgkmcnt(7)
	v_mul_f64 v[120:121], v[130:131], v[142:143]
	v_fma_f64 v[168:169], v[128:129], v[140:141], -v[120:121]
	v_mul_f64 v[120:121], v[128:129], v[142:143]
	v_fma_f64 v[164:165], v[130:131], v[140:141], v[120:121]
	s_waitcnt lgkmcnt(6)
	v_mul_f64 v[120:121], v[134:135], v[114:115]
	v_fma_f64 v[160:161], v[132:133], v[112:113], -v[120:121]
	v_mul_f64 v[120:121], v[132:133], v[114:115]
	v_fma_f64 v[156:157], v[134:135], v[112:113], v[120:121]
	s_waitcnt lgkmcnt(5)
	;; [unrolled: 5-line block ×3, first 2 shown]
	v_mul_f64 v[120:121], v[150:151], v[94:95]
	v_fma_f64 v[170:171], v[148:149], v[92:93], -v[120:121]
	v_mul_f64 v[120:121], v[148:149], v[94:95]
	v_fma_f64 v[166:167], v[150:151], v[92:93], v[120:121]
	global_load_dwordx4 v[132:135], v[176:177], off offset:592
	global_load_dwordx4 v[120:123], v[176:177], off offset:576
	;; [unrolled: 1-line block ×4, first 2 shown]
	v_add_f64 v[150:151], v[154:155], v[207:208]
	v_add_f64 v[150:151], v[150:151], v[190:191]
	;; [unrolled: 1-line block ×8, first 2 shown]
	s_waitcnt vmcnt(0) lgkmcnt(3)
	v_mul_f64 v[148:149], v[186:187], v[146:147]
	v_fma_f64 v[178:179], v[184:185], v[144:145], -v[148:149]
	v_mul_f64 v[148:149], v[184:185], v[146:147]
	v_fma_f64 v[176:177], v[186:187], v[144:145], v[148:149]
	s_waitcnt lgkmcnt(2)
	v_mul_f64 v[148:149], v[194:195], v[130:131]
	v_add_f64 v[150:151], v[150:151], v[176:177]
	v_fma_f64 v[186:187], v[192:193], v[128:129], -v[148:149]
	v_mul_f64 v[148:149], v[192:193], v[130:131]
	v_fma_f64 v[184:185], v[194:195], v[128:129], v[148:149]
	s_waitcnt lgkmcnt(1)
	v_mul_f64 v[148:149], v[198:199], v[122:123]
	v_add_f64 v[150:151], v[150:151], v[184:185]
	;; [unrolled: 6-line block ×3, first 2 shown]
	v_fma_f64 v[196:197], v[201:202], v[132:133], -v[148:149]
	v_mul_f64 v[148:149], v[201:202], v[134:135]
	v_add_f64 v[220:221], v[205:206], v[196:197]
	v_fma_f64 v[198:199], v[203:204], v[132:133], v[148:149]
	v_add_f64 v[148:149], v[152:153], v[205:206]
	v_add_f64 v[224:225], v[205:206], -v[196:197]
	v_add_f64 v[226:227], v[207:208], -v[198:199]
	v_add_f64 v[148:149], v[148:149], v[188:189]
	v_add_f64 v[150:151], v[150:151], v[198:199]
	;; [unrolled: 1-line block ×13, first 2 shown]
	v_mul_f64 v[196:197], v[226:227], s[20:21]
	v_fma_f64 v[198:199], v[220:221], s[22:23], -v[196:197]
	v_fma_f64 v[196:197], v[220:221], s[22:23], v[196:197]
	v_add_f64 v[228:229], v[152:153], v[198:199]
	v_mul_f64 v[198:199], v[224:225], s[20:21]
	v_add_f64 v[232:233], v[152:153], v[196:197]
	v_fma_f64 v[196:197], v[222:223], s[22:23], -v[198:199]
	v_fma_f64 v[201:202], v[222:223], s[22:23], v[198:199]
	v_add_f64 v[234:235], v[154:155], v[196:197]
	v_mul_f64 v[196:197], v[226:227], s[14:15]
	v_add_f64 v[230:231], v[154:155], v[201:202]
	;; [unrolled: 5-line block ×7, first 2 shown]
	v_fma_f64 v[201:202], v[222:223], s[18:19], v[198:199]
	v_fma_f64 v[196:197], v[222:223], s[18:19], -v[198:199]
	v_mul_f64 v[198:199], v[226:227], s[24:25]
	v_mul_f64 v[226:227], v[226:227], s[28:29]
	v_add_f64 v[248:249], v[154:155], v[201:202]
	v_add_f64 v[252:253], v[154:155], v[196:197]
	v_fma_f64 v[196:197], v[220:221], s[26:27], -v[198:199]
	v_mul_f64 v[201:202], v[224:225], s[24:25]
	v_fma_f64 v[198:199], v[220:221], s[26:27], v[198:199]
	v_fma_f64 v[211:212], v[220:221], s[30:31], -v[226:227]
	v_mul_f64 v[224:225], v[224:225], s[28:29]
	v_fma_f64 v[220:221], v[220:221], s[30:31], v[226:227]
	v_add_f64 v[254:255], v[152:153], v[196:197]
	v_fma_f64 v[196:197], v[222:223], s[26:27], v[201:202]
	v_add_f64 v[198:199], v[152:153], v[198:199]
	v_fma_f64 v[201:202], v[222:223], s[26:27], -v[201:202]
	v_add_f64 v[211:212], v[152:153], v[211:212]
	v_fma_f64 v[214:215], v[222:223], s[30:31], v[224:225]
	v_add_f64 v[152:153], v[152:153], v[220:221]
	v_fma_f64 v[220:221], v[222:223], s[30:31], -v[224:225]
	v_add_f64 v[222:223], v[190:191], v[194:195]
	v_add_f64 v[190:191], v[190:191], -v[194:195]
	v_add_f64 v[196:197], v[154:155], v[196:197]
	v_add_f64 v[201:202], v[154:155], v[201:202]
	;; [unrolled: 1-line block ×5, first 2 shown]
	v_add_f64 v[188:189], v[188:189], -v[192:193]
	v_mul_f64 v[192:193], v[190:191], s[14:15]
	v_mul_f64 v[224:225], v[188:189], s[14:15]
	v_fma_f64 v[194:195], v[220:221], s[12:13], -v[192:193]
	v_fma_f64 v[192:193], v[220:221], s[12:13], v[192:193]
	v_fma_f64 v[226:227], v[222:223], s[12:13], v[224:225]
	v_add_f64 v[194:195], v[194:195], v[228:229]
	v_mul_f64 v[228:229], v[190:191], s[16:17]
	v_add_f64 v[192:193], v[192:193], v[232:233]
	v_fma_f64 v[224:225], v[222:223], s[12:13], -v[224:225]
	v_mul_f64 v[232:233], v[188:189], s[16:17]
	v_add_f64 v[226:227], v[226:227], v[230:231]
	v_fma_f64 v[230:231], v[220:221], s[18:19], -v[228:229]
	v_fma_f64 v[228:229], v[220:221], s[18:19], v[228:229]
	v_add_f64 v[224:225], v[224:225], v[234:235]
	v_fma_f64 v[234:235], v[222:223], s[18:19], v[232:233]
	v_fma_f64 v[232:233], v[222:223], s[18:19], -v[232:233]
	v_add_f64 v[230:231], v[230:231], v[236:237]
	v_mul_f64 v[236:237], v[190:191], s[28:29]
	v_add_f64 v[228:229], v[228:229], v[240:241]
	v_add_f64 v[234:235], v[234:235], v[238:239]
	v_mul_f64 v[240:241], v[188:189], s[28:29]
	v_add_f64 v[232:233], v[232:233], v[242:243]
	v_fma_f64 v[238:239], v[220:221], s[30:31], -v[236:237]
	v_fma_f64 v[236:237], v[220:221], s[30:31], v[236:237]
	v_fma_f64 v[242:243], v[222:223], s[30:31], v[240:241]
	v_add_f64 v[238:239], v[238:239], v[244:245]
	v_add_f64 v[205:206], v[236:237], v[205:206]
	v_fma_f64 v[236:237], v[222:223], s[30:31], -v[240:241]
	v_add_f64 v[203:204], v[242:243], v[203:204]
	v_mul_f64 v[242:243], v[188:189], s[36:37]
	v_add_f64 v[207:208], v[236:237], v[207:208]
	v_mul_f64 v[236:237], v[190:191], s[36:37]
	v_fma_f64 v[244:245], v[222:223], s[26:27], v[242:243]
	v_fma_f64 v[242:243], v[222:223], s[26:27], -v[242:243]
	v_fma_f64 v[240:241], v[220:221], s[26:27], -v[236:237]
	v_fma_f64 v[236:237], v[220:221], s[26:27], v[236:237]
	v_add_f64 v[244:245], v[244:245], v[248:249]
	v_add_f64 v[242:243], v[242:243], v[252:253]
	;; [unrolled: 1-line block ×3, first 2 shown]
	v_mul_f64 v[246:247], v[190:191], s[34:35]
	v_add_f64 v[236:237], v[236:237], v[250:251]
	v_mul_f64 v[250:251], v[188:189], s[34:35]
	v_mul_f64 v[190:191], v[190:191], s[38:39]
	;; [unrolled: 1-line block ×3, first 2 shown]
	v_fma_f64 v[248:249], v[220:221], s[6:7], -v[246:247]
	v_fma_f64 v[246:247], v[220:221], s[6:7], v[246:247]
	v_fma_f64 v[252:253], v[222:223], s[6:7], v[250:251]
	v_add_f64 v[248:249], v[248:249], v[254:255]
	v_add_f64 v[198:199], v[246:247], v[198:199]
	v_fma_f64 v[246:247], v[222:223], s[6:7], -v[250:251]
	v_add_f64 v[196:197], v[252:253], v[196:197]
	v_add_f64 v[201:202], v[246:247], v[201:202]
	v_fma_f64 v[246:247], v[220:221], s[22:23], -v[190:191]
	v_fma_f64 v[190:191], v[220:221], s[22:23], v[190:191]
	v_add_f64 v[211:212], v[246:247], v[211:212]
	v_fma_f64 v[246:247], v[222:223], s[22:23], v[188:189]
	v_add_f64 v[152:153], v[190:191], v[152:153]
	v_fma_f64 v[188:189], v[222:223], s[22:23], -v[188:189]
	v_add_f64 v[190:191], v[180:181], v[184:185]
	v_add_f64 v[180:181], v[180:181], -v[184:185]
	v_add_f64 v[214:215], v[246:247], v[214:215]
	v_add_f64 v[154:155], v[188:189], v[154:155]
	;; [unrolled: 1-line block ×3, first 2 shown]
	v_mul_f64 v[184:185], v[180:181], s[4:5]
	v_add_f64 v[182:183], v[182:183], -v[186:187]
	v_fma_f64 v[186:187], v[188:189], s[6:7], -v[184:185]
	v_fma_f64 v[184:185], v[188:189], s[6:7], v[184:185]
	v_add_f64 v[186:187], v[186:187], v[194:195]
	v_mul_f64 v[194:195], v[182:183], s[4:5]
	v_add_f64 v[184:185], v[184:185], v[192:193]
	v_fma_f64 v[220:221], v[190:191], s[6:7], v[194:195]
	v_fma_f64 v[192:193], v[190:191], s[6:7], -v[194:195]
	v_mul_f64 v[194:195], v[180:181], s[28:29]
	v_add_f64 v[220:221], v[220:221], v[226:227]
	v_add_f64 v[192:193], v[192:193], v[224:225]
	v_fma_f64 v[222:223], v[188:189], s[30:31], -v[194:195]
	v_mul_f64 v[224:225], v[182:183], s[28:29]
	v_fma_f64 v[194:195], v[188:189], s[30:31], v[194:195]
	v_add_f64 v[222:223], v[222:223], v[230:231]
	v_fma_f64 v[226:227], v[190:191], s[30:31], v[224:225]
	v_add_f64 v[194:195], v[194:195], v[228:229]
	v_fma_f64 v[224:225], v[190:191], s[30:31], -v[224:225]
	v_mul_f64 v[228:229], v[180:181], s[40:41]
	v_add_f64 v[226:227], v[226:227], v[234:235]
	v_add_f64 v[224:225], v[224:225], v[232:233]
	v_fma_f64 v[230:231], v[188:189], s[18:19], -v[228:229]
	v_mul_f64 v[232:233], v[182:183], s[40:41]
	v_fma_f64 v[228:229], v[188:189], s[18:19], v[228:229]
	v_add_f64 v[230:231], v[230:231], v[238:239]
	v_fma_f64 v[234:235], v[190:191], s[18:19], v[232:233]
	v_add_f64 v[205:206], v[228:229], v[205:206]
	v_fma_f64 v[228:229], v[190:191], s[18:19], -v[232:233]
	v_add_f64 v[203:204], v[234:235], v[203:204]
	v_mul_f64 v[234:235], v[182:183], s[38:39]
	v_add_f64 v[207:208], v[228:229], v[207:208]
	v_mul_f64 v[228:229], v[180:181], s[38:39]
	v_fma_f64 v[238:239], v[190:191], s[22:23], v[234:235]
	v_fma_f64 v[234:235], v[190:191], s[22:23], -v[234:235]
	v_fma_f64 v[232:233], v[188:189], s[22:23], -v[228:229]
	v_fma_f64 v[228:229], v[188:189], s[22:23], v[228:229]
	v_add_f64 v[238:239], v[238:239], v[244:245]
	v_add_f64 v[234:235], v[234:235], v[242:243]
	;; [unrolled: 1-line block ×4, first 2 shown]
	v_mul_f64 v[236:237], v[180:181], s[14:15]
	v_mul_f64 v[242:243], v[182:183], s[14:15]
	;; [unrolled: 1-line block ×4, first 2 shown]
	v_fma_f64 v[240:241], v[188:189], s[12:13], -v[236:237]
	v_fma_f64 v[236:237], v[188:189], s[12:13], v[236:237]
	v_fma_f64 v[244:245], v[190:191], s[12:13], v[242:243]
	v_add_f64 v[240:241], v[240:241], v[248:249]
	v_add_f64 v[198:199], v[236:237], v[198:199]
	v_fma_f64 v[236:237], v[190:191], s[12:13], -v[242:243]
	v_add_f64 v[196:197], v[244:245], v[196:197]
	v_add_f64 v[201:202], v[236:237], v[201:202]
	v_fma_f64 v[236:237], v[188:189], s[26:27], -v[180:181]
	v_fma_f64 v[180:181], v[188:189], s[26:27], v[180:181]
	v_add_f64 v[211:212], v[236:237], v[211:212]
	v_fma_f64 v[236:237], v[190:191], s[26:27], v[182:183]
	v_add_f64 v[152:153], v[180:181], v[152:153]
	v_fma_f64 v[180:181], v[190:191], s[26:27], -v[182:183]
	v_add_f64 v[182:183], v[172:173], v[176:177]
	v_add_f64 v[172:173], v[172:173], -v[176:177]
	v_add_f64 v[214:215], v[236:237], v[214:215]
	v_add_f64 v[154:155], v[180:181], v[154:155]
	;; [unrolled: 1-line block ×3, first 2 shown]
	v_mul_f64 v[176:177], v[172:173], s[16:17]
	v_add_f64 v[174:175], v[174:175], -v[178:179]
	v_fma_f64 v[178:179], v[180:181], s[18:19], -v[176:177]
	v_fma_f64 v[176:177], v[180:181], s[18:19], v[176:177]
	v_add_f64 v[178:179], v[178:179], v[186:187]
	v_mul_f64 v[186:187], v[174:175], s[16:17]
	v_add_f64 v[176:177], v[176:177], v[184:185]
	v_fma_f64 v[188:189], v[182:183], s[18:19], v[186:187]
	v_fma_f64 v[184:185], v[182:183], s[18:19], -v[186:187]
	v_mul_f64 v[186:187], v[172:173], s[36:37]
	v_add_f64 v[188:189], v[188:189], v[220:221]
	v_add_f64 v[184:185], v[184:185], v[192:193]
	v_fma_f64 v[190:191], v[180:181], s[26:27], -v[186:187]
	v_mul_f64 v[192:193], v[174:175], s[36:37]
	v_fma_f64 v[186:187], v[180:181], s[26:27], v[186:187]
	v_add_f64 v[190:191], v[190:191], v[222:223]
	v_fma_f64 v[220:221], v[182:183], s[26:27], v[192:193]
	v_add_f64 v[186:187], v[186:187], v[194:195]
	v_fma_f64 v[192:193], v[182:183], s[26:27], -v[192:193]
	v_mul_f64 v[194:195], v[172:173], s[38:39]
	v_add_f64 v[220:221], v[220:221], v[226:227]
	v_add_f64 v[192:193], v[192:193], v[224:225]
	v_fma_f64 v[222:223], v[180:181], s[22:23], -v[194:195]
	v_mul_f64 v[224:225], v[174:175], s[38:39]
	v_fma_f64 v[194:195], v[180:181], s[22:23], v[194:195]
	v_add_f64 v[222:223], v[222:223], v[230:231]
	v_fma_f64 v[226:227], v[182:183], s[22:23], v[224:225]
	v_add_f64 v[194:195], v[194:195], v[205:206]
	v_fma_f64 v[205:206], v[182:183], s[22:23], -v[224:225]
	v_add_f64 v[203:204], v[226:227], v[203:204]
	v_mul_f64 v[226:227], v[174:175], s[4:5]
	v_add_f64 v[205:206], v[205:206], v[207:208]
	v_mul_f64 v[207:208], v[172:173], s[4:5]
	v_fma_f64 v[230:231], v[182:183], s[6:7], v[226:227]
	v_fma_f64 v[226:227], v[182:183], s[6:7], -v[226:227]
	v_fma_f64 v[224:225], v[180:181], s[6:7], -v[207:208]
	v_fma_f64 v[207:208], v[180:181], s[6:7], v[207:208]
	v_add_f64 v[230:231], v[230:231], v[238:239]
	v_add_f64 v[226:227], v[226:227], v[234:235]
	;; [unrolled: 1-line block ×4, first 2 shown]
	v_mul_f64 v[228:229], v[172:173], s[44:45]
	v_mul_f64 v[234:235], v[174:175], s[44:45]
	;; [unrolled: 1-line block ×4, first 2 shown]
	v_fma_f64 v[232:233], v[180:181], s[30:31], -v[228:229]
	v_fma_f64 v[228:229], v[180:181], s[30:31], v[228:229]
	v_fma_f64 v[236:237], v[182:183], s[30:31], v[234:235]
	v_add_f64 v[232:233], v[232:233], v[240:241]
	v_add_f64 v[198:199], v[228:229], v[198:199]
	v_fma_f64 v[228:229], v[182:183], s[30:31], -v[234:235]
	v_add_f64 v[196:197], v[236:237], v[196:197]
	v_add_f64 v[234:235], v[156:157], -v[158:159]
	v_add_f64 v[201:202], v[228:229], v[201:202]
	v_fma_f64 v[228:229], v[180:181], s[12:13], -v[172:173]
	v_fma_f64 v[172:173], v[180:181], s[12:13], v[172:173]
	v_add_f64 v[211:212], v[228:229], v[211:212]
	v_fma_f64 v[228:229], v[182:183], s[12:13], v[174:175]
	v_add_f64 v[152:153], v[172:173], v[152:153]
	v_fma_f64 v[172:173], v[182:183], s[12:13], -v[174:175]
	v_add_f64 v[174:175], v[164:165], v[166:167]
	v_add_f64 v[164:165], v[164:165], -v[166:167]
	v_add_f64 v[214:215], v[228:229], v[214:215]
	v_add_f64 v[154:155], v[172:173], v[154:155]
	;; [unrolled: 1-line block ×3, first 2 shown]
	v_mul_f64 v[166:167], v[164:165], s[24:25]
	v_add_f64 v[168:169], v[168:169], -v[170:171]
	v_fma_f64 v[170:171], v[172:173], s[26:27], -v[166:167]
	v_fma_f64 v[166:167], v[172:173], s[26:27], v[166:167]
	v_add_f64 v[170:171], v[170:171], v[178:179]
	v_mul_f64 v[178:179], v[168:169], s[24:25]
	v_add_f64 v[166:167], v[166:167], v[176:177]
	v_fma_f64 v[180:181], v[174:175], s[26:27], v[178:179]
	v_fma_f64 v[176:177], v[174:175], s[26:27], -v[178:179]
	v_mul_f64 v[178:179], v[164:165], s[34:35]
	v_add_f64 v[180:181], v[180:181], v[188:189]
	v_add_f64 v[176:177], v[176:177], v[184:185]
	v_fma_f64 v[182:183], v[172:173], s[6:7], -v[178:179]
	v_mul_f64 v[184:185], v[168:169], s[34:35]
	v_fma_f64 v[178:179], v[172:173], s[6:7], v[178:179]
	v_add_f64 v[182:183], v[182:183], v[190:191]
	v_fma_f64 v[188:189], v[174:175], s[6:7], v[184:185]
	v_add_f64 v[178:179], v[178:179], v[186:187]
	v_fma_f64 v[184:185], v[174:175], s[6:7], -v[184:185]
	v_mul_f64 v[186:187], v[164:165], s[14:15]
	v_add_f64 v[188:189], v[188:189], v[220:221]
	v_add_f64 v[184:185], v[184:185], v[192:193]
	v_fma_f64 v[190:191], v[172:173], s[12:13], -v[186:187]
	v_mul_f64 v[192:193], v[168:169], s[14:15]
	v_fma_f64 v[186:187], v[172:173], s[12:13], v[186:187]
	v_add_f64 v[190:191], v[190:191], v[222:223]
	v_fma_f64 v[220:221], v[174:175], s[12:13], v[192:193]
	v_add_f64 v[186:187], v[186:187], v[194:195]
	v_fma_f64 v[192:193], v[174:175], s[12:13], -v[192:193]
	v_mul_f64 v[194:195], v[164:165], s[44:45]
	v_add_f64 v[203:204], v[220:221], v[203:204]
	v_mul_f64 v[220:221], v[168:169], s[44:45]
	v_add_f64 v[192:193], v[192:193], v[205:206]
	v_fma_f64 v[205:206], v[172:173], s[30:31], -v[194:195]
	v_fma_f64 v[194:195], v[172:173], s[30:31], v[194:195]
	v_fma_f64 v[222:223], v[174:175], s[30:31], v[220:221]
	v_add_f64 v[205:206], v[205:206], v[224:225]
	v_add_f64 v[194:195], v[194:195], v[207:208]
	v_fma_f64 v[207:208], v[174:175], s[30:31], -v[220:221]
	v_mul_f64 v[220:221], v[164:165], s[38:39]
	v_mul_f64 v[164:165], v[164:165], s[16:17]
	v_add_f64 v[222:223], v[222:223], v[230:231]
	v_add_f64 v[230:231], v[156:157], v[158:159]
	v_mul_f64 v[156:157], v[234:235], s[28:29]
	v_add_f64 v[207:208], v[207:208], v[226:227]
	v_fma_f64 v[224:225], v[172:173], s[22:23], -v[220:221]
	v_mul_f64 v[226:227], v[168:169], s[38:39]
	v_fma_f64 v[220:221], v[172:173], s[22:23], v[220:221]
	v_mul_f64 v[168:169], v[168:169], s[16:17]
	v_add_f64 v[224:225], v[224:225], v[232:233]
	v_fma_f64 v[228:229], v[174:175], s[22:23], v[226:227]
	v_add_f64 v[198:199], v[220:221], v[198:199]
	v_fma_f64 v[220:221], v[174:175], s[22:23], -v[226:227]
	v_add_f64 v[232:233], v[160:161], -v[162:163]
	v_add_f64 v[196:197], v[228:229], v[196:197]
	v_add_f64 v[228:229], v[160:161], v[162:163]
	;; [unrolled: 1-line block ×3, first 2 shown]
	v_fma_f64 v[220:221], v[172:173], s[18:19], -v[164:165]
	v_fma_f64 v[164:165], v[172:173], s[18:19], v[164:165]
	v_mul_f64 v[172:173], v[234:235], s[24:25]
	v_mul_f64 v[158:159], v[232:233], s[28:29]
	v_add_f64 v[211:212], v[220:221], v[211:212]
	v_fma_f64 v[220:221], v[174:175], s[18:19], v[168:169]
	v_add_f64 v[214:215], v[220:221], v[214:215]
	v_add_f64 v[220:221], v[164:165], v[152:153]
	v_fma_f64 v[152:153], v[174:175], s[18:19], -v[168:169]
	v_fma_f64 v[168:169], v[228:229], s[26:27], -v[172:173]
	v_mul_f64 v[164:165], v[234:235], s[38:39]
	v_fma_f64 v[172:173], v[228:229], s[26:27], v[172:173]
	v_mul_f64 v[174:175], v[232:233], s[24:25]
	v_add_f64 v[226:227], v[152:153], v[154:155]
	v_fma_f64 v[152:153], v[228:229], s[30:31], -v[156:157]
	v_fma_f64 v[156:157], v[228:229], s[30:31], v[156:157]
	v_fma_f64 v[154:155], v[230:231], s[30:31], v[158:159]
	v_add_f64 v[168:169], v[168:169], v[190:191]
	v_mul_f64 v[190:191], v[232:233], s[16:17]
	v_fma_f64 v[160:161], v[228:229], s[22:23], -v[164:165]
	v_fma_f64 v[158:159], v[230:231], s[30:31], -v[158:159]
	v_add_f64 v[172:173], v[172:173], v[186:187]
	v_fma_f64 v[164:165], v[228:229], s[22:23], v[164:165]
	v_add_f64 v[156:157], v[156:157], v[166:167]
	v_mul_f64 v[166:167], v[232:233], s[38:39]
	v_add_f64 v[154:155], v[154:155], v[180:181]
	v_mul_f64 v[180:181], v[234:235], s[42:43]
	v_fma_f64 v[186:187], v[230:231], s[18:19], v[190:191]
	v_add_f64 v[160:161], v[160:161], v[182:183]
	v_mul_f64 v[182:183], v[232:233], s[42:43]
	v_add_f64 v[152:153], v[152:153], v[170:171]
	v_add_f64 v[158:159], v[158:159], v[176:177]
	v_fma_f64 v[162:163], v[230:231], s[22:23], v[166:167]
	v_fma_f64 v[166:167], v[230:231], s[22:23], -v[166:167]
	v_fma_f64 v[170:171], v[230:231], s[26:27], v[174:175]
	v_fma_f64 v[174:175], v[230:231], s[26:27], -v[174:175]
	v_fma_f64 v[176:177], v[228:229], s[12:13], -v[180:181]
	v_fma_f64 v[180:181], v[228:229], s[12:13], v[180:181]
	v_add_f64 v[186:187], v[186:187], v[196:197]
	v_mul_f64 v[196:197], v[234:235], s[34:35]
	v_add_f64 v[162:163], v[162:163], v[188:189]
	v_mul_f64 v[188:189], v[234:235], s[16:17]
	v_add_f64 v[166:167], v[166:167], v[184:185]
	v_add_f64 v[164:165], v[164:165], v[178:179]
	v_fma_f64 v[178:179], v[230:231], s[12:13], v[182:183]
	v_add_f64 v[174:175], v[174:175], v[192:193]
	v_add_f64 v[180:181], v[180:181], v[194:195]
	v_fma_f64 v[192:193], v[228:229], s[6:7], -v[196:197]
	v_fma_f64 v[196:197], v[228:229], s[6:7], v[196:197]
	v_fma_f64 v[184:185], v[228:229], s[18:19], -v[188:189]
	v_fma_f64 v[188:189], v[228:229], s[18:19], v[188:189]
	v_fma_f64 v[182:183], v[230:231], s[12:13], -v[182:183]
	v_fma_f64 v[190:191], v[230:231], s[18:19], -v[190:191]
	v_add_f64 v[170:171], v[170:171], v[203:204]
	v_add_f64 v[176:177], v[176:177], v[205:206]
	;; [unrolled: 1-line block ×6, first 2 shown]
	v_mul_f64 v[198:199], v[232:233], s[34:35]
	v_add_f64 v[196:197], v[196:197], v[220:221]
	v_add_f64 v[182:183], v[182:183], v[207:208]
	;; [unrolled: 1-line block ×3, first 2 shown]
	v_fma_f64 v[194:195], v[230:231], s[6:7], v[198:199]
	v_fma_f64 v[198:199], v[230:231], s[6:7], -v[198:199]
	v_add_f64 v[194:195], v[194:195], v[214:215]
	v_add_f64 v[198:199], v[198:199], v[226:227]
	ds_write_b128 v210, v[148:151]
	ds_write_b128 v210, v[152:155] offset:624
	ds_write_b128 v210, v[160:163] offset:1248
	;; [unrolled: 1-line block ×12, first 2 shown]
	v_add_co_u32_e64 v160, s[0:1], s0, v218
	v_addc_co_u32_e64 v161, s[0:1], 0, v219, s[0:1]
	s_movk_i32 s0, 0x1000
	v_add_co_u32_e64 v152, s[0:1], s0, v218
	v_addc_co_u32_e64 v153, s[0:1], 0, v219, s[0:1]
	s_waitcnt lgkmcnt(0)
	s_barrier
	global_load_dwordx4 v[152:155], v[152:153], off offset:4016
	ds_read_b128 v[148:151], v210
	s_movk_i32 s0, 0x3000
	s_waitcnt vmcnt(0) lgkmcnt(0)
	v_mul_f64 v[156:157], v[150:151], v[154:155]
	v_fma_f64 v[156:157], v[148:149], v[152:153], -v[156:157]
	v_mul_f64 v[148:149], v[148:149], v[154:155]
	v_fma_f64 v[158:159], v[150:151], v[152:153], v[148:149]
	global_load_dwordx4 v[152:155], v[160:161], off offset:624
	ds_read_b128 v[148:151], v210 offset:624
	ds_write_b128 v210, v[156:159]
	s_waitcnt vmcnt(0) lgkmcnt(1)
	v_mul_f64 v[156:157], v[150:151], v[154:155]
	v_fma_f64 v[156:157], v[148:149], v[152:153], -v[156:157]
	v_mul_f64 v[148:149], v[148:149], v[154:155]
	v_fma_f64 v[158:159], v[150:151], v[152:153], v[148:149]
	global_load_dwordx4 v[152:155], v[160:161], off offset:1248
	ds_read_b128 v[148:151], v210 offset:1248
	ds_write_b128 v210, v[156:159] offset:624
	s_waitcnt vmcnt(0) lgkmcnt(1)
	v_mul_f64 v[156:157], v[150:151], v[154:155]
	v_fma_f64 v[156:157], v[148:149], v[152:153], -v[156:157]
	v_mul_f64 v[148:149], v[148:149], v[154:155]
	v_fma_f64 v[158:159], v[150:151], v[152:153], v[148:149]
	global_load_dwordx4 v[152:155], v[160:161], off offset:1872
	ds_read_b128 v[148:151], v210 offset:1872
	ds_write_b128 v210, v[156:159] offset:1248
	;; [unrolled: 8-line block ×4, first 2 shown]
	s_waitcnt vmcnt(0) lgkmcnt(1)
	v_mul_f64 v[156:157], v[150:151], v[154:155]
	v_fma_f64 v[156:157], v[148:149], v[152:153], -v[156:157]
	v_mul_f64 v[148:149], v[148:149], v[154:155]
	v_fma_f64 v[158:159], v[150:151], v[152:153], v[148:149]
	global_load_dwordx4 v[152:155], v[160:161], off offset:3744
	ds_read_b128 v[148:151], v210 offset:3744
	v_add_co_u32_e64 v160, s[0:1], s0, v218
	v_addc_co_u32_e64 v161, s[0:1], 0, v219, s[0:1]
	ds_write_b128 v210, v[156:159] offset:3120
	s_waitcnt vmcnt(0) lgkmcnt(1)
	v_mul_f64 v[156:157], v[150:151], v[154:155]
	v_fma_f64 v[156:157], v[148:149], v[152:153], -v[156:157]
	v_mul_f64 v[148:149], v[148:149], v[154:155]
	v_fma_f64 v[158:159], v[150:151], v[152:153], v[148:149]
	global_load_dwordx4 v[152:155], v[160:161], off offset:192
	ds_read_b128 v[148:151], v210 offset:4368
	ds_write_b128 v210, v[156:159] offset:3744
	s_waitcnt vmcnt(0) lgkmcnt(1)
	v_mul_f64 v[156:157], v[150:151], v[154:155]
	v_fma_f64 v[156:157], v[148:149], v[152:153], -v[156:157]
	v_mul_f64 v[148:149], v[148:149], v[154:155]
	v_fma_f64 v[158:159], v[150:151], v[152:153], v[148:149]
	global_load_dwordx4 v[152:155], v[160:161], off offset:816
	ds_read_b128 v[148:151], v210 offset:4992
	;; [unrolled: 8-line block ×6, first 2 shown]
	ds_write_b128 v210, v[156:159] offset:6864
	s_waitcnt vmcnt(0) lgkmcnt(1)
	v_mul_f64 v[156:157], v[150:151], v[154:155]
	v_fma_f64 v[156:157], v[148:149], v[152:153], -v[156:157]
	v_mul_f64 v[148:149], v[148:149], v[154:155]
	v_fma_f64 v[158:159], v[150:151], v[152:153], v[148:149]
	ds_write_b128 v210, v[156:159] offset:7488
	s_waitcnt lgkmcnt(0)
	s_barrier
	ds_read_b128 v[184:187], v210
	ds_read_b128 v[188:191], v210 offset:624
	ds_read_b128 v[192:195], v210 offset:1248
	;; [unrolled: 1-line block ×12, first 2 shown]
	s_waitcnt lgkmcnt(11)
	v_add_f64 v[148:149], v[184:185], v[188:189]
	v_add_f64 v[150:151], v[186:187], v[190:191]
	s_waitcnt lgkmcnt(0)
	s_barrier
	v_add_f64 v[207:208], v[190:191], v[203:204]
	v_add_f64 v[190:191], v[190:191], -v[203:204]
	v_add_f64 v[205:206], v[188:189], v[201:202]
	v_add_f64 v[188:189], v[188:189], -v[201:202]
	v_add_f64 v[148:149], v[148:149], v[192:193]
	v_add_f64 v[150:151], v[150:151], v[194:195]
	v_mul_f64 v[211:212], v[207:208], s[22:23]
	v_mul_f64 v[218:219], v[190:191], s[14:15]
	v_mul_f64 v[226:227], v[190:191], s[4:5]
	v_mul_f64 v[234:235], v[190:191], s[16:17]
	v_add_f64 v[148:149], v[148:149], v[176:177]
	v_add_f64 v[150:151], v[150:151], v[178:179]
	v_mul_f64 v[242:243], v[190:191], s[24:25]
	v_mul_f64 v[222:223], v[207:208], s[12:13]
	;; [unrolled: 1-line block ×3, first 2 shown]
	v_fma_f64 v[220:221], v[205:206], s[12:13], v[218:219]
	v_fma_f64 v[218:219], v[205:206], s[12:13], -v[218:219]
	v_fma_f64 v[228:229], v[205:206], s[6:7], v[226:227]
	v_add_f64 v[148:149], v[148:149], v[168:169]
	v_add_f64 v[150:151], v[150:151], v[170:171]
	v_fma_f64 v[226:227], v[205:206], s[6:7], -v[226:227]
	v_fma_f64 v[236:237], v[205:206], s[18:19], v[234:235]
	v_mul_f64 v[238:239], v[207:208], s[18:19]
	v_fma_f64 v[234:235], v[205:206], s[18:19], -v[234:235]
	v_fma_f64 v[244:245], v[205:206], s[26:27], v[242:243]
	v_mul_f64 v[246:247], v[207:208], s[26:27]
	v_add_f64 v[148:149], v[148:149], v[160:161]
	v_add_f64 v[150:151], v[150:151], v[162:163]
	v_fma_f64 v[242:243], v[205:206], s[26:27], -v[242:243]
	v_mul_f64 v[207:208], v[207:208], s[30:31]
	v_fma_f64 v[214:215], v[188:189], s[38:39], v[211:212]
	v_fma_f64 v[211:212], v[188:189], s[20:21], v[211:212]
	v_add_f64 v[220:221], v[184:185], v[220:221]
	v_fma_f64 v[224:225], v[188:189], s[42:43], v[222:223]
	v_add_f64 v[148:149], v[148:149], v[152:153]
	v_add_f64 v[150:151], v[150:151], v[154:155]
	;; [unrolled: 1-line block ×3, first 2 shown]
	v_fma_f64 v[222:223], v[188:189], s[14:15], v[222:223]
	v_add_f64 v[228:229], v[184:185], v[228:229]
	v_fma_f64 v[232:233], v[188:189], s[34:35], v[230:231]
	v_add_f64 v[226:227], v[184:185], v[226:227]
	;; [unrolled: 2-line block ×3, first 2 shown]
	v_add_f64 v[150:151], v[150:151], v[158:159]
	v_add_f64 v[236:237], v[184:185], v[236:237]
	v_fma_f64 v[240:241], v[188:189], s[40:41], v[238:239]
	v_add_f64 v[234:235], v[184:185], v[234:235]
	v_fma_f64 v[238:239], v[188:189], s[16:17], v[238:239]
	v_add_f64 v[244:245], v[184:185], v[244:245]
	v_fma_f64 v[248:249], v[188:189], s[36:37], v[246:247]
	v_add_f64 v[148:149], v[148:149], v[164:165]
	v_add_f64 v[150:151], v[150:151], v[166:167]
	;; [unrolled: 1-line block ×3, first 2 shown]
	v_fma_f64 v[246:247], v[188:189], s[24:25], v[246:247]
	v_fma_f64 v[252:253], v[188:189], s[44:45], v[207:208]
	;; [unrolled: 1-line block ×3, first 2 shown]
	v_add_f64 v[214:215], v[186:187], v[214:215]
	v_add_f64 v[211:212], v[186:187], v[211:212]
	;; [unrolled: 1-line block ×17, first 2 shown]
	v_add_f64 v[192:193], v[192:193], -v[196:197]
	v_add_f64 v[148:149], v[148:149], v[196:197]
	v_add_f64 v[150:151], v[150:151], v[198:199]
	v_add_f64 v[148:149], v[148:149], v[201:202]
	v_mul_f64 v[201:202], v[190:191], s[20:21]
	v_mul_f64 v[190:191], v[190:191], s[28:29]
	v_add_f64 v[150:151], v[150:151], v[203:204]
	v_fma_f64 v[203:204], v[205:206], s[22:23], v[201:202]
	v_fma_f64 v[201:202], v[205:206], s[22:23], -v[201:202]
	v_fma_f64 v[250:251], v[205:206], s[30:31], v[190:191]
	v_fma_f64 v[190:191], v[205:206], s[30:31], -v[190:191]
	v_add_f64 v[203:204], v[184:185], v[203:204]
	v_add_f64 v[201:202], v[184:185], v[201:202]
	;; [unrolled: 1-line block ×5, first 2 shown]
	v_add_f64 v[194:195], v[194:195], -v[198:199]
	v_mul_f64 v[196:197], v[194:195], s[14:15]
	v_fma_f64 v[198:199], v[188:189], s[12:13], v[196:197]
	v_fma_f64 v[196:197], v[188:189], s[12:13], -v[196:197]
	v_add_f64 v[198:199], v[198:199], v[203:204]
	v_mul_f64 v[203:204], v[190:191], s[12:13]
	v_add_f64 v[196:197], v[196:197], v[201:202]
	v_fma_f64 v[205:206], v[192:193], s[42:43], v[203:204]
	v_fma_f64 v[201:202], v[192:193], s[14:15], v[203:204]
	v_mul_f64 v[203:204], v[194:195], s[16:17]
	v_add_f64 v[205:206], v[205:206], v[214:215]
	v_add_f64 v[201:202], v[201:202], v[211:212]
	v_fma_f64 v[207:208], v[188:189], s[18:19], v[203:204]
	v_fma_f64 v[203:204], v[188:189], s[18:19], -v[203:204]
	v_mul_f64 v[211:212], v[190:191], s[18:19]
	v_add_f64 v[207:208], v[207:208], v[220:221]
	v_add_f64 v[203:204], v[203:204], v[218:219]
	v_mul_f64 v[218:219], v[194:195], s[28:29]
	v_fma_f64 v[214:215], v[192:193], s[40:41], v[211:212]
	v_fma_f64 v[211:212], v[192:193], s[16:17], v[211:212]
	;; [unrolled: 1-line block ×3, first 2 shown]
	v_fma_f64 v[218:219], v[188:189], s[30:31], -v[218:219]
	v_add_f64 v[211:212], v[211:212], v[222:223]
	v_mul_f64 v[222:223], v[190:191], s[30:31]
	v_add_f64 v[214:215], v[214:215], v[224:225]
	v_add_f64 v[220:221], v[220:221], v[228:229]
	;; [unrolled: 1-line block ×3, first 2 shown]
	v_mul_f64 v[226:227], v[194:195], s[36:37]
	v_fma_f64 v[224:225], v[192:193], s[44:45], v[222:223]
	v_fma_f64 v[222:223], v[192:193], s[28:29], v[222:223]
	;; [unrolled: 1-line block ×3, first 2 shown]
	v_fma_f64 v[226:227], v[188:189], s[26:27], -v[226:227]
	v_add_f64 v[222:223], v[222:223], v[230:231]
	v_mul_f64 v[230:231], v[190:191], s[26:27]
	v_add_f64 v[224:225], v[224:225], v[232:233]
	v_add_f64 v[228:229], v[228:229], v[236:237]
	;; [unrolled: 1-line block ×3, first 2 shown]
	v_mul_f64 v[234:235], v[194:195], s[34:35]
	v_fma_f64 v[232:233], v[192:193], s[24:25], v[230:231]
	v_fma_f64 v[230:231], v[192:193], s[36:37], v[230:231]
	v_mul_f64 v[194:195], v[194:195], s[38:39]
	v_fma_f64 v[236:237], v[188:189], s[6:7], v[234:235]
	v_fma_f64 v[234:235], v[188:189], s[6:7], -v[234:235]
	v_add_f64 v[230:231], v[230:231], v[238:239]
	v_mul_f64 v[238:239], v[190:191], s[6:7]
	v_mul_f64 v[190:191], v[190:191], s[22:23]
	v_add_f64 v[232:233], v[232:233], v[240:241]
	v_add_f64 v[236:237], v[236:237], v[244:245]
	;; [unrolled: 1-line block ×3, first 2 shown]
	v_fma_f64 v[242:243], v[188:189], s[22:23], v[194:195]
	v_fma_f64 v[188:189], v[188:189], s[22:23], -v[194:195]
	v_fma_f64 v[244:245], v[192:193], s[20:21], v[190:191]
	v_fma_f64 v[240:241], v[192:193], s[4:5], v[238:239]
	;; [unrolled: 1-line block ×3, first 2 shown]
	v_add_f64 v[242:243], v[242:243], v[250:251]
	v_add_f64 v[184:185], v[188:189], v[184:185]
	v_fma_f64 v[188:189], v[192:193], s[38:39], v[190:191]
	v_add_f64 v[190:191], v[178:179], v[182:183]
	v_add_f64 v[178:179], v[178:179], -v[182:183]
	v_add_f64 v[240:241], v[240:241], v[248:249]
	v_add_f64 v[238:239], v[238:239], v[246:247]
	v_add_f64 v[244:245], v[244:245], v[252:253]
	v_add_f64 v[186:187], v[188:189], v[186:187]
	v_add_f64 v[188:189], v[176:177], v[180:181]
	v_add_f64 v[176:177], v[176:177], -v[180:181]
	v_mul_f64 v[180:181], v[178:179], s[4:5]
	v_mul_f64 v[192:193], v[190:191], s[6:7]
	v_fma_f64 v[182:183], v[188:189], s[6:7], v[180:181]
	v_fma_f64 v[180:181], v[188:189], s[6:7], -v[180:181]
	v_fma_f64 v[194:195], v[176:177], s[34:35], v[192:193]
	v_fma_f64 v[192:193], v[176:177], s[4:5], v[192:193]
	v_add_f64 v[182:183], v[182:183], v[198:199]
	v_add_f64 v[180:181], v[180:181], v[196:197]
	v_mul_f64 v[196:197], v[178:179], s[28:29]
	v_add_f64 v[192:193], v[192:193], v[201:202]
	v_mul_f64 v[201:202], v[190:191], s[30:31]
	v_add_f64 v[194:195], v[194:195], v[205:206]
	v_fma_f64 v[198:199], v[188:189], s[30:31], v[196:197]
	v_fma_f64 v[196:197], v[188:189], s[30:31], -v[196:197]
	v_fma_f64 v[205:206], v[176:177], s[44:45], v[201:202]
	v_fma_f64 v[201:202], v[176:177], s[28:29], v[201:202]
	v_add_f64 v[198:199], v[198:199], v[207:208]
	v_add_f64 v[196:197], v[196:197], v[203:204]
	v_mul_f64 v[203:204], v[178:179], s[40:41]
	v_add_f64 v[201:202], v[201:202], v[211:212]
	v_mul_f64 v[211:212], v[190:191], s[18:19]
	v_add_f64 v[205:206], v[205:206], v[214:215]
	;; [unrolled: 10-line block ×3, first 2 shown]
	v_fma_f64 v[220:221], v[188:189], s[22:23], v[218:219]
	v_fma_f64 v[218:219], v[188:189], s[22:23], -v[218:219]
	v_fma_f64 v[224:225], v[176:177], s[20:21], v[222:223]
	v_fma_f64 v[222:223], v[176:177], s[38:39], v[222:223]
	v_add_f64 v[220:221], v[220:221], v[228:229]
	v_add_f64 v[218:219], v[218:219], v[226:227]
	v_mul_f64 v[226:227], v[178:179], s[14:15]
	v_add_f64 v[222:223], v[222:223], v[230:231]
	v_mul_f64 v[230:231], v[190:191], s[12:13]
	v_mul_f64 v[190:191], v[190:191], s[26:27]
	v_add_f64 v[224:225], v[224:225], v[232:233]
	v_mul_f64 v[178:179], v[178:179], s[24:25]
	v_fma_f64 v[228:229], v[188:189], s[12:13], v[226:227]
	v_fma_f64 v[226:227], v[188:189], s[12:13], -v[226:227]
	v_fma_f64 v[232:233], v[176:177], s[42:43], v[230:231]
	v_fma_f64 v[230:231], v[176:177], s[14:15], v[230:231]
	v_add_f64 v[228:229], v[228:229], v[236:237]
	v_fma_f64 v[236:237], v[176:177], s[36:37], v[190:191]
	v_fma_f64 v[176:177], v[176:177], s[24:25], v[190:191]
	v_add_f64 v[226:227], v[226:227], v[234:235]
	v_fma_f64 v[234:235], v[188:189], s[26:27], v[178:179]
	v_fma_f64 v[178:179], v[188:189], s[26:27], -v[178:179]
	v_add_f64 v[232:233], v[232:233], v[240:241]
	v_add_f64 v[230:231], v[230:231], v[238:239]
	;; [unrolled: 1-line block ×5, first 2 shown]
	v_add_f64 v[170:171], v[170:171], -v[174:175]
	v_add_f64 v[178:179], v[178:179], v[184:185]
	v_add_f64 v[184:185], v[168:169], v[172:173]
	v_add_f64 v[168:169], v[168:169], -v[172:173]
	v_add_f64 v[234:235], v[234:235], v[242:243]
	v_mul_f64 v[172:173], v[170:171], s[16:17]
	v_fma_f64 v[174:175], v[184:185], s[18:19], v[172:173]
	v_fma_f64 v[172:173], v[184:185], s[18:19], -v[172:173]
	v_add_f64 v[174:175], v[174:175], v[182:183]
	v_mul_f64 v[182:183], v[186:187], s[18:19]
	v_add_f64 v[172:173], v[172:173], v[180:181]
	v_fma_f64 v[188:189], v[168:169], s[40:41], v[182:183]
	v_fma_f64 v[180:181], v[168:169], s[16:17], v[182:183]
	v_mul_f64 v[182:183], v[170:171], s[36:37]
	v_add_f64 v[188:189], v[188:189], v[194:195]
	v_add_f64 v[180:181], v[180:181], v[192:193]
	v_fma_f64 v[190:191], v[184:185], s[26:27], v[182:183]
	v_fma_f64 v[182:183], v[184:185], s[26:27], -v[182:183]
	v_mul_f64 v[192:193], v[186:187], s[26:27]
	v_add_f64 v[190:191], v[190:191], v[198:199]
	v_add_f64 v[182:183], v[182:183], v[196:197]
	v_mul_f64 v[196:197], v[170:171], s[38:39]
	v_fma_f64 v[194:195], v[168:169], s[24:25], v[192:193]
	v_fma_f64 v[192:193], v[168:169], s[36:37], v[192:193]
	;; [unrolled: 1-line block ×3, first 2 shown]
	v_fma_f64 v[196:197], v[184:185], s[22:23], -v[196:197]
	v_add_f64 v[192:193], v[192:193], v[201:202]
	v_mul_f64 v[201:202], v[186:187], s[22:23]
	v_add_f64 v[194:195], v[194:195], v[205:206]
	v_add_f64 v[198:199], v[198:199], v[207:208]
	;; [unrolled: 1-line block ×3, first 2 shown]
	v_mul_f64 v[203:204], v[170:171], s[4:5]
	v_fma_f64 v[205:206], v[168:169], s[20:21], v[201:202]
	v_fma_f64 v[201:202], v[168:169], s[38:39], v[201:202]
	;; [unrolled: 1-line block ×3, first 2 shown]
	v_fma_f64 v[203:204], v[184:185], s[6:7], -v[203:204]
	v_add_f64 v[201:202], v[201:202], v[211:212]
	v_mul_f64 v[211:212], v[186:187], s[6:7]
	v_add_f64 v[205:206], v[205:206], v[214:215]
	v_add_f64 v[207:208], v[207:208], v[220:221]
	;; [unrolled: 1-line block ×3, first 2 shown]
	v_mul_f64 v[218:219], v[170:171], s[44:45]
	v_fma_f64 v[214:215], v[168:169], s[34:35], v[211:212]
	v_fma_f64 v[211:212], v[168:169], s[4:5], v[211:212]
	v_mul_f64 v[170:171], v[170:171], s[42:43]
	v_fma_f64 v[220:221], v[184:185], s[30:31], v[218:219]
	v_fma_f64 v[218:219], v[184:185], s[30:31], -v[218:219]
	v_add_f64 v[211:212], v[211:212], v[222:223]
	v_mul_f64 v[222:223], v[186:187], s[30:31]
	v_mul_f64 v[186:187], v[186:187], s[12:13]
	v_add_f64 v[214:215], v[214:215], v[224:225]
	v_add_f64 v[220:221], v[220:221], v[228:229]
	v_add_f64 v[218:219], v[218:219], v[226:227]
	v_fma_f64 v[226:227], v[184:185], s[12:13], v[170:171]
	v_fma_f64 v[170:171], v[184:185], s[12:13], -v[170:171]
	v_fma_f64 v[224:225], v[168:169], s[28:29], v[222:223]
	v_fma_f64 v[222:223], v[168:169], s[44:45], v[222:223]
	v_fma_f64 v[228:229], v[168:169], s[14:15], v[186:187]
	v_fma_f64 v[168:169], v[168:169], s[42:43], v[186:187]
	v_add_f64 v[226:227], v[226:227], v[234:235]
	v_add_f64 v[170:171], v[170:171], v[178:179]
	;; [unrolled: 1-line block ×3, first 2 shown]
	v_add_f64 v[162:163], v[162:163], -v[166:167]
	v_add_f64 v[224:225], v[224:225], v[232:233]
	v_add_f64 v[168:169], v[168:169], v[176:177]
	;; [unrolled: 1-line block ×3, first 2 shown]
	v_add_f64 v[160:161], v[160:161], -v[164:165]
	v_add_f64 v[232:233], v[154:155], -v[158:159]
	v_add_f64 v[222:223], v[222:223], v[230:231]
	v_mul_f64 v[186:187], v[178:179], s[6:7]
	v_mul_f64 v[164:165], v[162:163], s[24:25]
	v_add_f64 v[228:229], v[228:229], v[236:237]
	v_add_f64 v[230:231], v[152:153], -v[156:157]
	v_fma_f64 v[166:167], v[176:177], s[26:27], v[164:165]
	v_fma_f64 v[164:165], v[176:177], s[26:27], -v[164:165]
	v_add_f64 v[166:167], v[166:167], v[174:175]
	v_mul_f64 v[174:175], v[178:179], s[26:27]
	v_add_f64 v[164:165], v[164:165], v[172:173]
	v_fma_f64 v[184:185], v[160:161], s[36:37], v[174:175]
	v_fma_f64 v[172:173], v[160:161], s[24:25], v[174:175]
	v_mul_f64 v[174:175], v[162:163], s[34:35]
	v_add_f64 v[184:185], v[184:185], v[188:189]
	v_add_f64 v[172:173], v[172:173], v[180:181]
	v_fma_f64 v[180:181], v[176:177], s[6:7], v[174:175]
	v_fma_f64 v[174:175], v[176:177], s[6:7], -v[174:175]
	v_fma_f64 v[188:189], v[160:161], s[4:5], v[186:187]
	v_add_f64 v[180:181], v[180:181], v[190:191]
	v_add_f64 v[174:175], v[174:175], v[182:183]
	v_fma_f64 v[182:183], v[160:161], s[34:35], v[186:187]
	v_mul_f64 v[186:187], v[162:163], s[14:15]
	v_add_f64 v[188:189], v[188:189], v[194:195]
	v_add_f64 v[182:183], v[182:183], v[192:193]
	v_fma_f64 v[190:191], v[176:177], s[12:13], v[186:187]
	v_fma_f64 v[186:187], v[176:177], s[12:13], -v[186:187]
	v_mul_f64 v[192:193], v[178:179], s[12:13]
	v_add_f64 v[190:191], v[190:191], v[198:199]
	v_add_f64 v[186:187], v[186:187], v[196:197]
	v_mul_f64 v[196:197], v[162:163], s[44:45]
	v_fma_f64 v[194:195], v[160:161], s[42:43], v[192:193]
	v_fma_f64 v[192:193], v[160:161], s[14:15], v[192:193]
	;; [unrolled: 1-line block ×3, first 2 shown]
	v_fma_f64 v[196:197], v[176:177], s[30:31], -v[196:197]
	v_add_f64 v[192:193], v[192:193], v[201:202]
	v_mul_f64 v[201:202], v[178:179], s[30:31]
	v_add_f64 v[194:195], v[194:195], v[205:206]
	v_add_f64 v[198:199], v[198:199], v[207:208]
	;; [unrolled: 1-line block ×3, first 2 shown]
	v_mul_f64 v[203:204], v[162:163], s[38:39]
	v_fma_f64 v[205:206], v[160:161], s[28:29], v[201:202]
	v_fma_f64 v[201:202], v[160:161], s[44:45], v[201:202]
	v_mul_f64 v[162:163], v[162:163], s[16:17]
	v_fma_f64 v[207:208], v[176:177], s[22:23], v[203:204]
	v_fma_f64 v[203:204], v[176:177], s[22:23], -v[203:204]
	v_add_f64 v[201:202], v[201:202], v[211:212]
	v_mul_f64 v[211:212], v[178:179], s[22:23]
	v_mul_f64 v[178:179], v[178:179], s[18:19]
	v_add_f64 v[205:206], v[205:206], v[214:215]
	v_add_f64 v[207:208], v[207:208], v[220:221]
	;; [unrolled: 1-line block ×3, first 2 shown]
	v_fma_f64 v[218:219], v[176:177], s[18:19], v[162:163]
	v_fma_f64 v[214:215], v[160:161], s[20:21], v[211:212]
	;; [unrolled: 1-line block ×5, first 2 shown]
	v_fma_f64 v[162:163], v[176:177], s[18:19], -v[162:163]
	v_add_f64 v[218:219], v[218:219], v[226:227]
	v_add_f64 v[226:227], v[152:153], v[156:157]
	v_mul_f64 v[152:153], v[232:233], s[28:29]
	v_add_f64 v[220:221], v[220:221], v[228:229]
	v_add_f64 v[228:229], v[154:155], v[158:159]
	;; [unrolled: 1-line block ×6, first 2 shown]
	v_fma_f64 v[154:155], v[226:227], s[30:31], v[152:153]
	v_fma_f64 v[152:153], v[226:227], s[30:31], -v[152:153]
	v_add_f64 v[156:157], v[154:155], v[166:167]
	v_mul_f64 v[154:155], v[228:229], s[30:31]
	v_add_f64 v[152:153], v[152:153], v[164:165]
	v_mul_f64 v[164:165], v[232:233], s[38:39]
	v_mul_f64 v[166:167], v[228:229], s[22:23]
	v_fma_f64 v[158:159], v[230:231], s[44:45], v[154:155]
	v_fma_f64 v[154:155], v[230:231], s[28:29], v[154:155]
	;; [unrolled: 1-line block ×3, first 2 shown]
	v_fma_f64 v[164:165], v[226:227], s[22:23], -v[164:165]
	v_fma_f64 v[162:163], v[230:231], s[20:21], v[166:167]
	v_fma_f64 v[166:167], v[230:231], s[38:39], v[166:167]
	v_add_f64 v[158:159], v[158:159], v[184:185]
	v_add_f64 v[154:155], v[154:155], v[172:173]
	v_mul_f64 v[172:173], v[232:233], s[24:25]
	v_add_f64 v[160:161], v[160:161], v[180:181]
	v_mul_f64 v[180:181], v[232:233], s[42:43]
	;; [unrolled: 2-line block ×4, first 2 shown]
	v_add_f64 v[162:163], v[162:163], v[188:189]
	v_fma_f64 v[168:169], v[226:227], s[26:27], v[172:173]
	v_fma_f64 v[172:173], v[226:227], s[26:27], -v[172:173]
	v_fma_f64 v[176:177], v[226:227], s[12:13], v[180:181]
	v_fma_f64 v[180:181], v[226:227], s[12:13], -v[180:181]
	v_mul_f64 v[188:189], v[232:233], s[16:17]
	v_fma_f64 v[170:171], v[230:231], s[36:37], v[174:175]
	v_fma_f64 v[174:175], v[230:231], s[24:25], v[174:175]
	;; [unrolled: 1-line block ×3, first 2 shown]
	v_add_f64 v[168:169], v[168:169], v[190:191]
	v_mul_f64 v[190:191], v[228:229], s[18:19]
	v_add_f64 v[176:177], v[176:177], v[198:199]
	v_add_f64 v[180:181], v[180:181], v[196:197]
	v_mul_f64 v[196:197], v[232:233], s[34:35]
	v_mul_f64 v[198:199], v[228:229], s[6:7]
	v_add_f64 v[172:173], v[172:173], v[186:187]
	v_fma_f64 v[184:185], v[226:227], s[18:19], v[188:189]
	v_add_f64 v[170:171], v[170:171], v[194:195]
	v_fma_f64 v[186:187], v[230:231], s[40:41], v[190:191]
	;; [unrolled: 2-line block ×3, first 2 shown]
	v_fma_f64 v[192:193], v[226:227], s[6:7], v[196:197]
	v_fma_f64 v[194:195], v[230:231], s[4:5], v[198:199]
	v_fma_f64 v[188:189], v[226:227], s[18:19], -v[188:189]
	v_fma_f64 v[190:191], v[230:231], s[16:17], v[190:191]
	v_fma_f64 v[196:197], v[226:227], s[6:7], -v[196:197]
	v_fma_f64 v[198:199], v[230:231], s[34:35], v[198:199]
	v_add_f64 v[178:179], v[178:179], v[205:206]
	v_add_f64 v[184:185], v[184:185], v[207:208]
	;; [unrolled: 1-line block ×10, first 2 shown]
	ds_write_b128 v213, v[148:151]
	ds_write_b128 v213, v[156:159] offset:16
	ds_write_b128 v213, v[160:163] offset:32
	;; [unrolled: 1-line block ×12, first 2 shown]
	s_waitcnt lgkmcnt(0)
	s_barrier
	ds_read_b128 v[164:167], v210
	ds_read_b128 v[196:199], v210 offset:2704
	ds_read_b128 v[188:191], v210 offset:5408
	;; [unrolled: 1-line block ×11, first 2 shown]
	s_and_saveexec_b64 s[0:1], vcc
	s_cbranch_execz .LBB0_7
; %bb.6:
	ds_read_b128 v[152:155], v210 offset:2496
	ds_read_b128 v[96:99], v210 offset:5200
	;; [unrolled: 1-line block ×3, first 2 shown]
.LBB0_7:
	s_or_b64 exec, exec, s[0:1]
	s_waitcnt lgkmcnt(10)
	v_mul_f64 v[201:202], v[66:67], v[198:199]
	v_mul_f64 v[66:67], v[66:67], v[196:197]
	s_waitcnt lgkmcnt(9)
	v_mul_f64 v[203:204], v[62:63], v[190:191]
	v_mul_f64 v[62:63], v[62:63], v[188:189]
	;; [unrolled: 3-line block ×4, first 2 shown]
	v_fma_f64 v[196:197], v[64:65], v[196:197], v[201:202]
	v_fma_f64 v[64:65], v[64:65], v[198:199], -v[66:67]
	v_fma_f64 v[66:67], v[60:61], v[188:189], v[203:204]
	v_fma_f64 v[62:63], v[60:61], v[190:191], -v[62:63]
	s_waitcnt lgkmcnt(4)
	v_mul_f64 v[60:61], v[82:83], v[180:181]
	v_mul_f64 v[188:189], v[82:83], v[182:183]
	v_fma_f64 v[82:83], v[72:73], v[192:193], v[205:206]
	v_fma_f64 v[72:73], v[72:73], v[194:195], -v[74:75]
	v_fma_f64 v[74:75], v[68:69], v[184:185], v[207:208]
	s_waitcnt lgkmcnt(3)
	v_mul_f64 v[184:185], v[78:79], v[170:171]
	v_fma_f64 v[186:187], v[68:69], v[186:187], -v[70:71]
	v_mul_f64 v[68:69], v[78:79], v[168:169]
	v_fma_f64 v[182:183], v[80:81], v[182:183], -v[60:61]
	s_waitcnt lgkmcnt(1)
	v_mul_f64 v[60:61], v[90:91], v[178:179]
	v_mul_f64 v[70:71], v[90:91], v[176:177]
	v_add_f64 v[78:79], v[196:197], v[66:67]
	v_fma_f64 v[180:181], v[80:81], v[180:181], v[188:189]
	v_fma_f64 v[90:91], v[76:77], v[168:169], v[184:185]
	s_waitcnt lgkmcnt(0)
	v_mul_f64 v[80:81], v[86:87], v[174:175]
	v_mul_f64 v[86:87], v[86:87], v[172:173]
	v_fma_f64 v[168:169], v[76:77], v[170:171], -v[68:69]
	v_add_f64 v[68:69], v[164:165], v[196:197]
	v_fma_f64 v[170:171], v[88:89], v[176:177], v[60:61]
	v_fma_f64 v[176:177], v[88:89], v[178:179], -v[70:71]
	v_fma_f64 v[70:71], v[78:79], -0.5, v[164:165]
	v_add_f64 v[76:77], v[64:65], -v[62:63]
	v_add_f64 v[78:79], v[64:65], v[62:63]
	s_mov_b32 s0, 0xe8584caa
	s_mov_b32 s1, 0xbfebb67a
	;; [unrolled: 1-line block ×4, first 2 shown]
	v_fma_f64 v[164:165], v[84:85], v[172:173], v[80:81]
	v_fma_f64 v[172:173], v[84:85], v[174:175], -v[86:87]
	v_add_f64 v[60:61], v[68:69], v[66:67]
	v_add_f64 v[80:81], v[166:167], v[64:65]
	v_fma_f64 v[64:65], v[76:77], s[0:1], v[70:71]
	v_add_f64 v[84:85], v[82:83], v[74:75]
	v_fma_f64 v[78:79], v[78:79], -0.5, v[166:167]
	v_add_f64 v[86:87], v[196:197], -v[66:67]
	v_fma_f64 v[68:69], v[76:77], s[4:5], v[70:71]
	v_add_f64 v[76:77], v[72:73], v[186:187]
	v_add_f64 v[88:89], v[72:73], -v[186:187]
	v_add_f64 v[62:63], v[80:81], v[62:63]
	v_add_f64 v[80:81], v[160:161], v[82:83]
	v_fma_f64 v[84:85], v[84:85], -0.5, v[160:161]
	v_add_f64 v[82:83], v[82:83], -v[74:75]
	v_fma_f64 v[66:67], v[86:87], s[4:5], v[78:79]
	v_fma_f64 v[70:71], v[86:87], s[0:1], v[78:79]
	v_add_f64 v[78:79], v[162:163], v[72:73]
	v_fma_f64 v[86:87], v[76:77], -0.5, v[162:163]
	v_add_f64 v[162:163], v[156:157], v[180:181]
	v_add_f64 v[160:161], v[180:181], v[90:91]
	;; [unrolled: 1-line block ×3, first 2 shown]
	v_fma_f64 v[76:77], v[88:89], s[0:1], v[84:85]
	v_fma_f64 v[80:81], v[88:89], s[4:5], v[84:85]
	v_add_f64 v[166:167], v[182:183], v[168:169]
	v_add_f64 v[74:75], v[78:79], v[186:187]
	v_fma_f64 v[78:79], v[82:83], s[4:5], v[86:87]
	v_fma_f64 v[82:83], v[82:83], s[0:1], v[86:87]
	v_add_f64 v[84:85], v[162:163], v[90:91]
	v_add_f64 v[86:87], v[170:171], v[164:165]
	;; [unrolled: 1-line block ×3, first 2 shown]
	v_fma_f64 v[156:157], v[160:161], -0.5, v[156:157]
	v_add_f64 v[160:161], v[182:183], -v[168:169]
	s_barrier
	v_fma_f64 v[158:159], v[166:167], -0.5, v[158:159]
	v_fma_f64 v[178:179], v[86:87], -0.5, v[148:149]
	v_add_f64 v[86:87], v[162:163], v[168:169]
	buffer_load_dword v168, off, s[48:51], 0 offset:8 ; 4-byte Folded Reload
	v_fma_f64 v[88:89], v[160:161], s[0:1], v[156:157]
	v_fma_f64 v[156:157], v[160:161], s[4:5], v[156:157]
	v_add_f64 v[160:161], v[176:177], v[172:173]
	v_add_f64 v[166:167], v[180:181], -v[90:91]
	v_add_f64 v[174:175], v[148:149], v[170:171]
	v_add_f64 v[180:181], v[176:177], -v[172:173]
	;; [unrolled: 2-line block ×3, first 2 shown]
	s_waitcnt vmcnt(0)
	ds_write_b128 v168, v[60:63]
	ds_write_b128 v168, v[64:67] offset:208
	ds_write_b128 v168, v[68:71] offset:416
	buffer_load_dword v60, off, s[48:51], 0 offset:12 ; 4-byte Folded Reload
	v_fma_f64 v[182:183], v[160:161], -0.5, v[150:151]
	v_fma_f64 v[90:91], v[166:167], s[4:5], v[158:159]
	v_fma_f64 v[158:159], v[166:167], s[0:1], v[158:159]
	v_add_f64 v[148:149], v[174:175], v[164:165]
	v_add_f64 v[150:151], v[176:177], v[172:173]
	v_fma_f64 v[160:161], v[180:181], s[0:1], v[178:179]
	v_fma_f64 v[164:165], v[180:181], s[4:5], v[178:179]
	;; [unrolled: 1-line block ×4, first 2 shown]
	s_waitcnt vmcnt(0)
	ds_write_b128 v60, v[72:75]
	ds_write_b128 v60, v[76:79] offset:208
	ds_write_b128 v60, v[80:83] offset:416
	ds_write_b128 v216, v[84:87]
	ds_write_b128 v216, v[88:91] offset:208
	ds_write_b128 v216, v[156:159] offset:416
	;; [unrolled: 3-line block ×3, first 2 shown]
	s_and_saveexec_b64 s[6:7], vcc
	s_cbranch_execz .LBB0_9
; %bb.8:
	v_mul_f64 v[60:61], v[58:59], v[96:97]
	v_mul_f64 v[62:63], v[54:55], v[104:105]
	;; [unrolled: 1-line block ×4, first 2 shown]
	v_fma_f64 v[60:61], v[56:57], v[98:99], -v[60:61]
	v_fma_f64 v[62:63], v[52:53], v[106:107], -v[62:63]
	v_fma_f64 v[56:57], v[56:57], v[96:97], v[58:59]
	v_fma_f64 v[52:53], v[52:53], v[104:105], v[54:55]
	v_add_f64 v[66:67], v[154:155], v[60:61]
	v_add_f64 v[54:55], v[60:61], v[62:63]
	v_add_f64 v[70:71], v[60:61], -v[62:63]
	v_add_f64 v[58:59], v[56:57], v[52:53]
	v_add_f64 v[64:65], v[56:57], -v[52:53]
	v_add_f64 v[56:57], v[152:153], v[56:57]
	v_fma_f64 v[68:69], v[54:55], -0.5, v[154:155]
	v_add_f64 v[54:55], v[66:67], v[62:63]
	v_fma_f64 v[72:73], v[58:59], -0.5, v[152:153]
	v_add_f64 v[52:53], v[56:57], v[52:53]
	v_fma_f64 v[58:59], v[64:65], s[0:1], v[68:69]
	v_fma_f64 v[62:63], v[64:65], s[4:5], v[68:69]
	buffer_load_dword v64, off, s[48:51], 0 offset:4 ; 4-byte Folded Reload
	buffer_load_dword v65, off, s[48:51], 0 ; 4-byte Folded Reload
	v_fma_f64 v[60:61], v[70:71], s[0:1], v[72:73]
	v_fma_f64 v[56:57], v[70:71], s[4:5], v[72:73]
	s_waitcnt vmcnt(1)
	v_and_b32_e32 v64, 0xff, v64
	s_waitcnt vmcnt(0)
	v_lshl_add_u32 v64, v64, 4, v65
	ds_write_b128 v64, v[52:55] offset:7488
	ds_write_b128 v64, v[60:63] offset:7696
	;; [unrolled: 1-line block ×3, first 2 shown]
.LBB0_9:
	s_or_b64 exec, exec, s[6:7]
	s_waitcnt lgkmcnt(0)
	s_barrier
	ds_read_b128 v[52:55], v210 offset:624
	ds_read_b128 v[56:59], v210 offset:1248
	ds_read_b128 v[72:75], v210
	ds_read_b128 v[60:63], v210 offset:1872
	s_mov_b32 s0, 0xe00740e9
	s_mov_b32 s1, 0x3fec55a7
	s_waitcnt lgkmcnt(2)
	v_mul_f64 v[68:69], v[126:127], v[58:59]
	v_mul_f64 v[64:65], v[138:139], v[54:55]
	;; [unrolled: 1-line block ×4, first 2 shown]
	s_waitcnt lgkmcnt(0)
	v_mul_f64 v[76:77], v[118:119], v[62:63]
	v_mul_f64 v[78:79], v[118:119], v[60:61]
	s_mov_b32 s6, 0x4267c47c
	s_mov_b32 s16, 0x42a4c3d2
	v_fma_f64 v[104:105], v[124:125], v[56:57], v[68:69]
	v_fma_f64 v[96:97], v[136:137], v[52:53], v[64:65]
	v_fma_f64 v[98:99], v[136:137], v[54:55], -v[66:67]
	v_fma_f64 v[106:107], v[124:125], v[58:59], -v[70:71]
	ds_read_b128 v[52:55], v210 offset:2496
	ds_read_b128 v[64:67], v210 offset:3120
	;; [unrolled: 1-line block ×4, first 2 shown]
	s_mov_b32 s4, 0x66966769
	s_mov_b32 s22, 0x2ef20147
	s_waitcnt lgkmcnt(3)
	v_mul_f64 v[84:85], v[110:111], v[54:55]
	v_add_f64 v[80:81], v[72:73], v[96:97]
	v_add_f64 v[82:83], v[74:75], v[98:99]
	v_mul_f64 v[86:87], v[110:111], v[52:53]
	v_fma_f64 v[110:111], v[116:117], v[60:61], v[76:77]
	v_fma_f64 v[116:117], v[116:117], v[62:63], -v[78:79]
	s_waitcnt lgkmcnt(2)
	v_mul_f64 v[118:119], v[142:143], v[66:67]
	v_mul_f64 v[124:125], v[142:143], v[64:65]
	v_fma_f64 v[126:127], v[108:109], v[52:53], v[84:85]
	v_add_f64 v[60:61], v[80:81], v[104:105]
	v_add_f64 v[62:63], v[82:83], v[106:107]
	v_fma_f64 v[108:109], v[108:109], v[54:55], -v[86:87]
	s_waitcnt lgkmcnt(1)
	v_mul_f64 v[136:137], v[114:115], v[58:59]
	v_mul_f64 v[114:115], v[114:115], v[56:57]
	v_fma_f64 v[64:65], v[140:141], v[64:65], v[118:119]
	v_fma_f64 v[66:67], v[140:141], v[66:67], -v[124:125]
	s_waitcnt lgkmcnt(0)
	v_mul_f64 v[118:119], v[102:103], v[70:71]
	v_add_f64 v[60:61], v[60:61], v[110:111]
	v_add_f64 v[62:63], v[62:63], v[116:117]
	v_mul_f64 v[102:103], v[102:103], v[68:69]
	v_fma_f64 v[56:57], v[112:113], v[56:57], v[136:137]
	v_fma_f64 v[58:59], v[112:113], v[58:59], -v[114:115]
	ds_read_b128 v[76:79], v210 offset:4992
	ds_read_b128 v[80:83], v210 offset:5616
	;; [unrolled: 1-line block ×5, first 2 shown]
	s_mov_b32 s30, 0x24c2f84
	v_add_f64 v[60:61], v[60:61], v[126:127]
	v_add_f64 v[62:63], v[62:63], v[108:109]
	s_waitcnt lgkmcnt(4)
	v_mul_f64 v[124:125], v[94:95], v[78:79]
	v_mul_f64 v[94:95], v[94:95], v[76:77]
	s_waitcnt lgkmcnt(2)
	v_mul_f64 v[136:137], v[130:131], v[54:55]
	s_mov_b32 s34, 0xd0032e0c
	s_mov_b32 s38, 0x4bc48dbf
	;; [unrolled: 1-line block ×3, first 2 shown]
	v_add_f64 v[112:113], v[60:61], v[64:65]
	v_add_f64 v[114:115], v[62:63], v[66:67]
	v_fma_f64 v[60:61], v[100:101], v[68:69], v[118:119]
	v_fma_f64 v[62:63], v[100:101], v[70:71], -v[102:103]
	s_waitcnt lgkmcnt(0)
	v_mul_f64 v[118:119], v[134:135], v[88:89]
	v_fma_f64 v[68:69], v[92:93], v[76:77], v[124:125]
	v_fma_f64 v[70:71], v[92:93], v[78:79], -v[94:95]
	v_mul_f64 v[92:93], v[134:135], v[90:91]
	v_add_f64 v[100:101], v[112:113], v[56:57]
	v_add_f64 v[102:103], v[114:115], v[58:59]
	v_mul_f64 v[112:113], v[146:147], v[82:83]
	v_mul_f64 v[114:115], v[146:147], v[80:81]
	;; [unrolled: 1-line block ×3, first 2 shown]
	v_fma_f64 v[90:91], v[132:133], v[90:91], -v[118:119]
	s_mov_b32 s25, 0x3fddbe06
	v_fma_f64 v[88:89], v[132:133], v[88:89], v[92:93]
	v_add_f64 v[76:77], v[100:101], v[60:61]
	v_add_f64 v[78:79], v[102:103], v[62:63]
	v_fma_f64 v[80:81], v[144:145], v[80:81], v[112:113]
	v_fma_f64 v[82:83], v[144:145], v[82:83], -v[114:115]
	v_mul_f64 v[100:101], v[122:123], v[86:87]
	v_mul_f64 v[92:93], v[122:123], v[84:85]
	v_add_f64 v[102:103], v[98:99], -v[90:91]
	v_add_f64 v[98:99], v[98:99], v[90:91]
	v_add_f64 v[76:77], v[76:77], v[68:69]
	v_add_f64 v[78:79], v[78:79], v[70:71]
	v_fma_f64 v[112:113], v[128:129], v[52:53], v[136:137]
	v_fma_f64 v[94:95], v[128:129], v[54:55], -v[94:95]
	v_fma_f64 v[84:85], v[120:121], v[84:85], v[100:101]
	v_fma_f64 v[86:87], v[120:121], v[86:87], -v[92:93]
	s_mov_b32 s24, s6
	v_mul_f64 v[114:115], v[98:99], s[0:1]
	v_add_f64 v[52:53], v[76:77], v[80:81]
	v_add_f64 v[54:55], v[78:79], v[82:83]
	v_add_f64 v[78:79], v[96:97], -v[88:89]
	s_mov_b32 s17, 0xbfea55e2
	s_mov_b32 s5, 0xbfefc445
	;; [unrolled: 1-line block ×5, first 2 shown]
	v_add_f64 v[52:53], v[52:53], v[112:113]
	v_add_f64 v[54:55], v[54:55], v[94:95]
	s_mov_b32 s39, 0xbfcea1e5
	v_add_f64 v[76:77], v[96:97], v[88:89]
	v_mul_f64 v[96:97], v[102:103], s[6:7]
	v_fma_f64 v[100:101], v[78:79], s[24:25], v[114:115]
	v_fma_f64 v[114:115], v[78:79], s[6:7], v[114:115]
	v_mul_f64 v[118:119], v[102:103], s[16:17]
	v_add_f64 v[52:53], v[52:53], v[84:85]
	v_add_f64 v[54:55], v[54:55], v[86:87]
	v_mul_f64 v[120:121], v[102:103], s[4:5]
	v_mul_f64 v[132:133], v[102:103], s[22:23]
	;; [unrolled: 1-line block ×5, first 2 shown]
	v_add_f64 v[148:149], v[106:107], v[86:87]
	v_add_f64 v[86:87], v[106:107], -v[86:87]
	s_mov_b32 s18, 0x1ea71119
	s_mov_b32 s12, 0xebaa3ed8
	s_mov_b32 s26, 0xb2365da1
	s_mov_b32 s40, 0x93053d00
	s_mov_b32 s19, 0x3fe22d96
	s_mov_b32 s13, 0x3fbedb7d
	s_mov_b32 s27, 0xbfd6b1d8
	s_mov_b32 s36, s30
	s_mov_b32 s41, 0xbfef11f4
	v_fma_f64 v[92:93], v[76:77], s[0:1], v[96:97]
	v_fma_f64 v[96:97], v[76:77], s[0:1], -v[96:97]
	v_add_f64 v[52:53], v[52:53], v[88:89]
	v_add_f64 v[54:55], v[54:55], v[90:91]
	;; [unrolled: 1-line block ×3, first 2 shown]
	v_fma_f64 v[90:91], v[76:77], s[18:19], v[118:119]
	v_mul_f64 v[114:115], v[98:99], s[18:19]
	v_mul_f64 v[122:123], v[98:99], s[12:13]
	v_fma_f64 v[118:119], v[76:77], s[18:19], -v[118:119]
	v_fma_f64 v[128:129], v[76:77], s[12:13], v[120:121]
	v_fma_f64 v[120:121], v[76:77], s[12:13], -v[120:121]
	v_fma_f64 v[134:135], v[76:77], s[26:27], v[132:133]
	v_mul_f64 v[136:137], v[98:99], s[26:27]
	v_fma_f64 v[132:133], v[76:77], s[26:27], -v[132:133]
	v_fma_f64 v[144:145], v[76:77], s[34:35], v[138:139]
	v_fma_f64 v[146:147], v[78:79], s[36:37], v[140:141]
	v_fma_f64 v[138:139], v[76:77], s[34:35], -v[138:139]
	v_fma_f64 v[140:141], v[78:79], s[30:31], v[140:141]
	v_mul_f64 v[98:99], v[98:99], s[40:41]
	v_fma_f64 v[106:107], v[76:77], s[40:41], v[102:103]
	v_add_f64 v[150:151], v[104:105], v[84:85]
	v_add_f64 v[84:85], v[104:105], -v[84:85]
	v_mul_f64 v[104:105], v[86:87], s[16:17]
	v_mul_f64 v[152:153], v[148:149], s[18:19]
	v_fma_f64 v[76:77], v[76:77], s[40:41], -v[102:103]
	s_mov_b32 s21, 0x3fea55e2
	s_mov_b32 s20, s16
	;; [unrolled: 1-line block ×8, first 2 shown]
	v_add_f64 v[92:93], v[72:73], v[92:93]
	v_add_f64 v[100:101], v[74:75], v[100:101]
	;; [unrolled: 1-line block ×3, first 2 shown]
	v_fma_f64 v[124:125], v[78:79], s[20:21], v[114:115]
	v_add_f64 v[90:91], v[72:73], v[90:91]
	v_fma_f64 v[114:115], v[78:79], s[16:17], v[114:115]
	v_fma_f64 v[130:131], v[78:79], s[14:15], v[122:123]
	v_add_f64 v[118:119], v[72:73], v[118:119]
	v_add_f64 v[128:129], v[72:73], v[128:129]
	v_fma_f64 v[122:123], v[78:79], s[4:5], v[122:123]
	v_fma_f64 v[142:143], v[78:79], s[28:29], v[136:137]
	;; [unrolled: 1-line block ×3, first 2 shown]
	v_add_f64 v[120:121], v[72:73], v[120:121]
	v_add_f64 v[134:135], v[72:73], v[134:135]
	;; [unrolled: 1-line block ×4, first 2 shown]
	v_fma_f64 v[154:155], v[78:79], s[42:43], v[98:99]
	v_fma_f64 v[78:79], v[78:79], s[38:39], v[98:99]
	v_add_f64 v[98:99], v[72:73], v[138:139]
	v_add_f64 v[102:103], v[74:75], v[140:141]
	v_fma_f64 v[138:139], v[150:151], s[18:19], v[104:105]
	v_fma_f64 v[140:141], v[84:85], s[20:21], v[152:153]
	v_add_f64 v[106:107], v[72:73], v[106:107]
	v_add_f64 v[72:73], v[72:73], v[76:77]
	v_mul_f64 v[76:77], v[86:87], s[22:23]
	v_add_f64 v[124:125], v[74:75], v[124:125]
	v_add_f64 v[114:115], v[74:75], v[114:115]
	;; [unrolled: 1-line block ×9, first 2 shown]
	v_mul_f64 v[78:79], v[148:149], s[26:27]
	v_add_f64 v[92:93], v[138:139], v[92:93]
	v_add_f64 v[100:101], v[140:141], v[100:101]
	v_fma_f64 v[104:105], v[150:151], s[18:19], -v[104:105]
	v_fma_f64 v[138:139], v[84:85], s[16:17], v[152:153]
	v_mul_f64 v[140:141], v[86:87], s[38:39]
	v_mul_f64 v[152:153], v[148:149], s[40:41]
	v_fma_f64 v[156:157], v[150:151], s[26:27], v[76:77]
	v_fma_f64 v[76:77], v[150:151], s[26:27], -v[76:77]
	v_fma_f64 v[158:159], v[84:85], s[28:29], v[78:79]
	v_fma_f64 v[78:79], v[84:85], s[22:23], v[78:79]
	v_add_f64 v[96:97], v[104:105], v[96:97]
	v_add_f64 v[88:89], v[138:139], v[88:89]
	v_fma_f64 v[104:105], v[150:151], s[40:41], v[140:141]
	v_fma_f64 v[138:139], v[84:85], s[42:43], v[152:153]
	v_fma_f64 v[140:141], v[150:151], s[40:41], -v[140:141]
	v_add_f64 v[76:77], v[76:77], v[118:119]
	v_mul_f64 v[118:119], v[148:149], s[34:35]
	v_add_f64 v[124:125], v[158:159], v[124:125]
	v_add_f64 v[78:79], v[78:79], v[114:115]
	v_mul_f64 v[114:115], v[86:87], s[36:37]
	v_add_f64 v[104:105], v[104:105], v[128:129]
	v_add_f64 v[128:129], v[138:139], v[130:131]
	v_mul_f64 v[130:131], v[86:87], s[14:15]
	v_mul_f64 v[138:139], v[148:149], s[12:13]
	v_fma_f64 v[158:159], v[84:85], s[30:31], v[118:119]
	v_add_f64 v[90:91], v[156:157], v[90:91]
	v_fma_f64 v[118:119], v[84:85], s[36:37], v[118:119]
	v_fma_f64 v[156:157], v[150:151], s[34:35], v[114:115]
	v_fma_f64 v[114:115], v[150:151], s[34:35], -v[114:115]
	v_add_f64 v[120:121], v[140:141], v[120:121]
	v_fma_f64 v[160:161], v[150:151], s[12:13], v[130:131]
	v_fma_f64 v[162:163], v[84:85], s[4:5], v[138:139]
	v_add_f64 v[140:141], v[158:159], v[142:143]
	v_add_f64 v[142:143], v[116:117], -v[94:95]
	v_add_f64 v[94:95], v[116:117], v[94:95]
	v_fma_f64 v[152:153], v[84:85], s[38:39], v[152:153]
	v_add_f64 v[114:115], v[114:115], v[132:133]
	v_add_f64 v[118:119], v[118:119], v[136:137]
	;; [unrolled: 1-line block ×4, first 2 shown]
	v_mul_f64 v[116:117], v[148:149], s[0:1]
	v_fma_f64 v[130:131], v[150:151], s[12:13], -v[130:131]
	v_add_f64 v[144:145], v[110:111], v[112:113]
	v_add_f64 v[110:111], v[110:111], -v[112:113]
	v_mul_f64 v[112:113], v[142:143], s[4:5]
	v_mul_f64 v[146:147], v[94:95], s[12:13]
	v_add_f64 v[122:123], v[152:153], v[122:123]
	v_mul_f64 v[86:87], v[86:87], s[24:25]
	v_fma_f64 v[138:139], v[84:85], s[14:15], v[138:139]
	v_fma_f64 v[152:153], v[84:85], s[6:7], v[116:117]
	v_fma_f64 v[84:85], v[84:85], s[24:25], v[116:117]
	v_add_f64 v[98:99], v[130:131], v[98:99]
	v_fma_f64 v[116:117], v[144:145], s[12:13], v[112:113]
	v_fma_f64 v[130:131], v[110:111], s[14:15], v[146:147]
	v_fma_f64 v[112:113], v[144:145], s[12:13], -v[112:113]
	v_fma_f64 v[148:149], v[150:151], s[0:1], v[86:87]
	v_fma_f64 v[86:87], v[150:151], s[0:1], -v[86:87]
	v_add_f64 v[102:103], v[138:139], v[102:103]
	v_add_f64 v[74:75], v[84:85], v[74:75]
	v_mul_f64 v[84:85], v[142:143], s[38:39]
	v_add_f64 v[92:93], v[116:117], v[92:93]
	v_add_f64 v[100:101], v[130:131], v[100:101]
	v_fma_f64 v[116:117], v[110:111], s[4:5], v[146:147]
	v_mul_f64 v[130:131], v[142:143], s[28:29]
	v_mul_f64 v[146:147], v[94:95], s[26:27]
	v_add_f64 v[106:107], v[148:149], v[106:107]
	v_add_f64 v[72:73], v[86:87], v[72:73]
	v_mul_f64 v[86:87], v[94:95], s[40:41]
	v_fma_f64 v[148:149], v[144:145], s[40:41], v[84:85]
	v_fma_f64 v[84:85], v[144:145], s[40:41], -v[84:85]
	v_add_f64 v[96:97], v[112:113], v[96:97]
	v_add_f64 v[88:89], v[116:117], v[88:89]
	v_fma_f64 v[112:113], v[144:145], s[26:27], v[130:131]
	v_fma_f64 v[116:117], v[110:111], s[22:23], v[146:147]
	v_add_f64 v[138:139], v[152:153], v[154:155]
	v_fma_f64 v[150:151], v[110:111], s[42:43], v[86:87]
	v_fma_f64 v[86:87], v[110:111], s[38:39], v[86:87]
	v_add_f64 v[76:77], v[84:85], v[76:77]
	v_mul_f64 v[84:85], v[142:143], s[24:25]
	v_add_f64 v[90:91], v[148:149], v[90:91]
	v_add_f64 v[104:105], v[112:113], v[104:105]
	;; [unrolled: 1-line block ×3, first 2 shown]
	v_mul_f64 v[116:117], v[142:143], s[16:17]
	v_mul_f64 v[128:129], v[94:95], s[18:19]
	v_add_f64 v[78:79], v[86:87], v[78:79]
	v_mul_f64 v[86:87], v[94:95], s[0:1]
	v_fma_f64 v[148:149], v[144:145], s[0:1], v[84:85]
	v_fma_f64 v[84:85], v[144:145], s[0:1], -v[84:85]
	v_add_f64 v[134:135], v[156:157], v[134:135]
	v_add_f64 v[124:125], v[150:151], v[124:125]
	v_fma_f64 v[152:153], v[144:145], s[18:19], v[116:117]
	v_fma_f64 v[130:131], v[144:145], s[26:27], -v[130:131]
	v_fma_f64 v[154:155], v[110:111], s[20:21], v[128:129]
	v_fma_f64 v[150:151], v[110:111], s[6:7], v[86:87]
	;; [unrolled: 1-line block ×3, first 2 shown]
	v_add_f64 v[84:85], v[84:85], v[114:115]
	v_fma_f64 v[146:147], v[110:111], s[28:29], v[146:147]
	v_mul_f64 v[94:95], v[94:95], s[34:35]
	v_add_f64 v[114:115], v[152:153], v[132:133]
	v_add_f64 v[132:133], v[108:109], -v[82:83]
	v_add_f64 v[82:83], v[108:109], v[82:83]
	v_add_f64 v[120:121], v[130:131], v[120:121]
	;; [unrolled: 1-line block ×6, first 2 shown]
	v_mul_f64 v[108:109], v[142:143], s[30:31]
	v_fma_f64 v[116:117], v[144:145], s[18:19], -v[116:117]
	v_add_f64 v[136:137], v[126:127], v[80:81]
	v_add_f64 v[80:81], v[126:127], -v[80:81]
	v_mul_f64 v[126:127], v[132:133], s[22:23]
	v_mul_f64 v[140:141], v[82:83], s[26:27]
	v_add_f64 v[122:123], v[146:147], v[122:123]
	v_fma_f64 v[128:129], v[110:111], s[16:17], v[128:129]
	v_fma_f64 v[142:143], v[144:145], s[34:35], v[108:109]
	;; [unrolled: 1-line block ×3, first 2 shown]
	v_fma_f64 v[108:109], v[144:145], s[34:35], -v[108:109]
	v_fma_f64 v[94:95], v[110:111], s[30:31], v[94:95]
	v_add_f64 v[98:99], v[116:117], v[98:99]
	v_fma_f64 v[110:111], v[136:137], s[26:27], v[126:127]
	v_fma_f64 v[116:117], v[80:81], s[28:29], v[140:141]
	v_add_f64 v[102:103], v[128:129], v[102:103]
	v_add_f64 v[106:107], v[142:143], v[106:107]
	v_add_f64 v[128:129], v[146:147], v[138:139]
	v_add_f64 v[72:73], v[108:109], v[72:73]
	v_add_f64 v[74:75], v[94:95], v[74:75]
	v_mul_f64 v[94:95], v[132:133], s[36:37]
	v_mul_f64 v[108:109], v[82:83], s[34:35]
	v_add_f64 v[92:93], v[110:111], v[92:93]
	v_add_f64 v[100:101], v[116:117], v[100:101]
	v_fma_f64 v[110:111], v[136:137], s[26:27], -v[126:127]
	v_fma_f64 v[116:117], v[80:81], s[22:23], v[140:141]
	v_mul_f64 v[126:127], v[132:133], s[24:25]
	v_mul_f64 v[138:139], v[82:83], s[0:1]
	v_fma_f64 v[140:141], v[136:137], s[34:35], v[94:95]
	v_fma_f64 v[142:143], v[80:81], s[30:31], v[108:109]
	v_fma_f64 v[94:95], v[136:137], s[34:35], -v[94:95]
	v_fma_f64 v[108:109], v[80:81], s[36:37], v[108:109]
	v_add_f64 v[96:97], v[110:111], v[96:97]
	v_add_f64 v[88:89], v[116:117], v[88:89]
	v_fma_f64 v[110:111], v[136:137], s[0:1], v[126:127]
	v_fma_f64 v[116:117], v[80:81], s[6:7], v[138:139]
	v_add_f64 v[90:91], v[140:141], v[90:91]
	v_add_f64 v[124:125], v[142:143], v[124:125]
	;; [unrolled: 1-line block ×4, first 2 shown]
	v_mul_f64 v[94:95], v[132:133], s[4:5]
	v_mul_f64 v[108:109], v[82:83], s[12:13]
	v_add_f64 v[104:105], v[110:111], v[104:105]
	v_add_f64 v[110:111], v[116:117], v[112:113]
	v_fma_f64 v[112:113], v[136:137], s[0:1], -v[126:127]
	v_fma_f64 v[116:117], v[80:81], s[24:25], v[138:139]
	v_mul_f64 v[126:127], v[132:133], s[42:43]
	v_mul_f64 v[138:139], v[82:83], s[40:41]
	v_fma_f64 v[140:141], v[136:137], s[12:13], v[94:95]
	v_fma_f64 v[142:143], v[80:81], s[14:15], v[108:109]
	v_fma_f64 v[94:95], v[136:137], s[12:13], -v[94:95]
	v_fma_f64 v[108:109], v[80:81], s[4:5], v[108:109]
	v_add_f64 v[112:113], v[112:113], v[120:121]
	v_add_f64 v[116:117], v[116:117], v[122:123]
	v_fma_f64 v[120:121], v[136:137], s[40:41], v[126:127]
	v_fma_f64 v[122:123], v[80:81], s[38:39], v[138:139]
	v_mul_f64 v[82:83], v[82:83], s[18:19]
	v_add_f64 v[130:131], v[140:141], v[130:131]
	v_add_f64 v[84:85], v[94:95], v[84:85]
	;; [unrolled: 1-line block ×3, first 2 shown]
	v_mul_f64 v[94:95], v[132:133], s[20:21]
	v_add_f64 v[132:133], v[64:65], v[68:69]
	v_add_f64 v[108:109], v[120:121], v[114:115]
	;; [unrolled: 1-line block ×3, first 2 shown]
	v_add_f64 v[118:119], v[66:67], -v[70:71]
	v_add_f64 v[66:67], v[66:67], v[70:71]
	v_fma_f64 v[70:71], v[136:137], s[40:41], -v[126:127]
	v_fma_f64 v[120:121], v[80:81], s[42:43], v[138:139]
	v_fma_f64 v[122:123], v[136:137], s[18:19], v[94:95]
	v_add_f64 v[64:65], v[64:65], -v[68:69]
	v_fma_f64 v[126:127], v[80:81], s[16:17], v[82:83]
	v_fma_f64 v[94:95], v[136:137], s[18:19], -v[94:95]
	v_mul_f64 v[68:69], v[118:119], s[30:31]
	v_mul_f64 v[138:139], v[66:67], s[34:35]
	v_fma_f64 v[80:81], v[80:81], s[20:21], v[82:83]
	v_add_f64 v[70:71], v[70:71], v[98:99]
	v_add_f64 v[82:83], v[120:121], v[102:103]
	;; [unrolled: 1-line block ×5, first 2 shown]
	v_fma_f64 v[106:107], v[132:133], s[34:35], v[68:69]
	v_fma_f64 v[120:121], v[64:65], s[36:37], v[138:139]
	v_add_f64 v[74:75], v[80:81], v[74:75]
	v_mul_f64 v[80:81], v[118:119], s[14:15]
	v_mul_f64 v[94:95], v[66:67], s[12:13]
	v_fma_f64 v[68:69], v[132:133], s[34:35], -v[68:69]
	v_fma_f64 v[122:123], v[64:65], s[30:31], v[138:139]
	v_add_f64 v[134:135], v[142:143], v[134:135]
	v_add_f64 v[92:93], v[106:107], v[92:93]
	;; [unrolled: 1-line block ×3, first 2 shown]
	v_mul_f64 v[106:107], v[118:119], s[16:17]
	v_mul_f64 v[120:121], v[66:67], s[18:19]
	v_fma_f64 v[126:127], v[132:133], s[12:13], v[80:81]
	v_fma_f64 v[128:129], v[64:65], s[4:5], v[94:95]
	v_add_f64 v[68:69], v[68:69], v[96:97]
	v_add_f64 v[88:89], v[122:123], v[88:89]
	v_fma_f64 v[80:81], v[132:133], s[12:13], -v[80:81]
	v_fma_f64 v[94:95], v[64:65], s[14:15], v[94:95]
	v_fma_f64 v[96:97], v[132:133], s[18:19], v[106:107]
	;; [unrolled: 1-line block ×3, first 2 shown]
	v_add_f64 v[90:91], v[126:127], v[90:91]
	v_add_f64 v[124:125], v[128:129], v[124:125]
	v_mul_f64 v[126:127], v[118:119], s[42:43]
	v_mul_f64 v[128:129], v[66:67], s[40:41]
	v_add_f64 v[76:77], v[80:81], v[76:77]
	v_add_f64 v[78:79], v[94:95], v[78:79]
	;; [unrolled: 1-line block ×4, first 2 shown]
	v_fma_f64 v[96:97], v[132:133], s[18:19], -v[106:107]
	v_fma_f64 v[104:105], v[64:65], s[16:17], v[120:121]
	v_mul_f64 v[120:121], v[118:119], s[24:25]
	v_mul_f64 v[122:123], v[66:67], s[0:1]
	v_fma_f64 v[106:107], v[132:133], s[40:41], v[126:127]
	v_fma_f64 v[110:111], v[64:65], s[38:39], v[128:129]
	v_fma_f64 v[126:127], v[132:133], s[40:41], -v[126:127]
	v_fma_f64 v[128:129], v[64:65], s[42:43], v[128:129]
	v_add_f64 v[96:97], v[96:97], v[112:113]
	v_add_f64 v[104:105], v[104:105], v[116:117]
	v_fma_f64 v[112:113], v[132:133], s[0:1], v[120:121]
	v_fma_f64 v[116:117], v[64:65], s[6:7], v[122:123]
	v_mul_f64 v[118:119], v[118:119], s[22:23]
	v_fma_f64 v[120:121], v[132:133], s[0:1], -v[120:121]
	v_add_f64 v[84:85], v[126:127], v[84:85]
	v_add_f64 v[86:87], v[128:129], v[86:87]
	v_fma_f64 v[122:123], v[64:65], s[24:25], v[122:123]
	v_mul_f64 v[66:67], v[66:67], s[26:27]
	v_add_f64 v[108:109], v[112:113], v[108:109]
	v_add_f64 v[112:113], v[116:117], v[114:115]
	v_add_f64 v[114:115], v[58:59], -v[62:63]
	v_add_f64 v[116:117], v[58:59], v[62:63]
	v_fma_f64 v[58:59], v[132:133], s[26:27], v[118:119]
	v_add_f64 v[126:127], v[56:57], v[60:61]
	v_add_f64 v[128:129], v[56:57], -v[60:61]
	v_add_f64 v[120:121], v[120:121], v[70:71]
	v_add_f64 v[122:123], v[122:123], v[82:83]
	v_fma_f64 v[62:63], v[64:65], s[28:29], v[66:67]
	v_mul_f64 v[56:57], v[114:115], s[38:39]
	v_mul_f64 v[60:61], v[116:117], s[40:41]
	v_fma_f64 v[70:71], v[132:133], s[26:27], -v[118:119]
	v_fma_f64 v[64:65], v[64:65], s[22:23], v[66:67]
	v_add_f64 v[98:99], v[58:59], v[98:99]
	v_mul_f64 v[82:83], v[114:115], s[24:25]
	v_mul_f64 v[118:119], v[116:117], s[0:1]
	v_add_f64 v[106:107], v[106:107], v[130:131]
	v_fma_f64 v[58:59], v[126:127], s[40:41], v[56:57]
	v_add_f64 v[102:103], v[62:63], v[102:103]
	v_fma_f64 v[62:63], v[128:129], s[42:43], v[60:61]
	v_add_f64 v[130:131], v[70:71], v[72:73]
	v_add_f64 v[132:133], v[64:65], v[74:75]
	v_fma_f64 v[64:65], v[126:127], s[40:41], -v[56:57]
	v_fma_f64 v[66:67], v[128:129], s[38:39], v[60:61]
	v_fma_f64 v[70:71], v[126:127], s[0:1], v[82:83]
	;; [unrolled: 1-line block ×3, first 2 shown]
	v_add_f64 v[56:57], v[58:59], v[92:93]
	v_mul_f64 v[74:75], v[114:115], s[30:31]
	v_mul_f64 v[92:93], v[116:117], s[34:35]
	v_add_f64 v[58:59], v[62:63], v[100:101]
	v_add_f64 v[60:61], v[64:65], v[68:69]
	;; [unrolled: 1-line block ×5, first 2 shown]
	v_fma_f64 v[68:69], v[126:127], s[0:1], -v[82:83]
	v_fma_f64 v[70:71], v[128:129], s[24:25], v[118:119]
	v_fma_f64 v[72:73], v[126:127], s[34:35], v[74:75]
	;; [unrolled: 1-line block ×3, first 2 shown]
	v_mul_f64 v[88:89], v[114:115], s[20:21]
	v_mul_f64 v[90:91], v[116:117], s[18:19]
	v_fma_f64 v[92:93], v[128:129], s[30:31], v[92:93]
	v_fma_f64 v[100:101], v[126:127], s[34:35], -v[74:75]
	v_add_f64 v[68:69], v[68:69], v[76:77]
	v_add_f64 v[70:71], v[70:71], v[78:79]
	;; [unrolled: 1-line block ×4, first 2 shown]
	v_fma_f64 v[80:81], v[126:127], s[18:19], v[88:89]
	v_fma_f64 v[82:83], v[128:129], s[16:17], v[90:91]
	v_add_f64 v[78:79], v[92:93], v[104:105]
	v_fma_f64 v[88:89], v[126:127], s[18:19], -v[88:89]
	v_fma_f64 v[90:91], v[128:129], s[20:21], v[90:91]
	v_mul_f64 v[92:93], v[114:115], s[22:23]
	v_mul_f64 v[94:95], v[116:117], s[26:27]
	v_add_f64 v[76:77], v[100:101], v[96:97]
	v_mul_f64 v[96:97], v[114:115], s[14:15]
	v_mul_f64 v[100:101], v[116:117], s[12:13]
	v_add_f64 v[110:111], v[110:111], v[134:135]
	v_add_f64 v[84:85], v[88:89], v[84:85]
	;; [unrolled: 1-line block ×3, first 2 shown]
	v_fma_f64 v[88:89], v[126:127], s[26:27], v[92:93]
	v_fma_f64 v[90:91], v[128:129], s[28:29], v[94:95]
	v_add_f64 v[80:81], v[80:81], v[106:107]
	v_fma_f64 v[104:105], v[126:127], s[12:13], v[96:97]
	v_fma_f64 v[106:107], v[128:129], s[4:5], v[100:101]
	v_add_f64 v[82:83], v[82:83], v[110:111]
	v_fma_f64 v[110:111], v[126:127], s[12:13], -v[96:97]
	v_fma_f64 v[114:115], v[128:129], s[14:15], v[100:101]
	v_fma_f64 v[92:93], v[126:127], s[26:27], -v[92:93]
	v_fma_f64 v[94:95], v[128:129], s[22:23], v[94:95]
	v_add_f64 v[88:89], v[88:89], v[108:109]
	v_add_f64 v[90:91], v[90:91], v[112:113]
	;; [unrolled: 1-line block ×8, first 2 shown]
	ds_write_b128 v210, v[52:55]
	ds_write_b128 v210, v[56:59] offset:624
	ds_write_b128 v210, v[64:67] offset:1248
	;; [unrolled: 1-line block ×12, first 2 shown]
	s_waitcnt lgkmcnt(0)
	s_barrier
	ds_read_b128 v[52:55], v210
	ds_read_b128 v[56:59], v210 offset:624
	v_mad_u64_u32 v[60:61], s[0:1], s10, v200, 0
	s_waitcnt lgkmcnt(1)
	v_mul_f64 v[62:63], v[50:51], v[54:55]
	v_mul_f64 v[50:51], v[50:51], v[52:53]
	v_mad_u64_u32 v[64:65], s[0:1], s11, v200, v[61:62]
	v_mad_u64_u32 v[65:66], s[0:1], s8, v209, 0
	v_fma_f64 v[52:53], v[48:49], v[52:53], v[62:63]
	v_fma_f64 v[50:51], v[48:49], v[54:55], -v[50:51]
	v_mov_b32_e32 v48, v66
	v_mad_u64_u32 v[54:55], s[0:1], s9, v209, v[48:49]
	s_mov_b32 s0, 0xfc7729e9
	s_mov_b32 s1, 0x3f602864
	v_mov_b32_e32 v66, v54
	s_waitcnt lgkmcnt(0)
	v_mul_f64 v[54:55], v[30:31], v[58:59]
	v_mul_f64 v[30:31], v[30:31], v[56:57]
	v_mov_b32_e32 v61, v64
	v_mul_f64 v[48:49], v[52:53], s[0:1]
	v_mul_f64 v[50:51], v[50:51], s[0:1]
	v_lshlrev_b64 v[52:53], 4, v[60:61]
	v_mov_b32_e32 v60, s3
	v_add_co_u32_e32 v61, vcc, s2, v52
	v_fma_f64 v[54:55], v[28:29], v[56:57], v[54:55]
	v_fma_f64 v[56:57], v[28:29], v[58:59], -v[30:31]
	ds_read_b128 v[28:31], v210 offset:1248
	v_addc_co_u32_e32 v60, vcc, v60, v53, vcc
	v_lshlrev_b64 v[52:53], 4, v[65:66]
	s_mul_i32 s2, s9, 0x270
	v_add_co_u32_e32 v58, vcc, v61, v52
	v_addc_co_u32_e32 v59, vcc, v60, v53, vcc
	global_store_dwordx4 v[58:59], v[48:51], off
	s_mul_hi_u32 s3, s8, 0x270
	v_mul_f64 v[48:49], v[54:55], s[0:1]
	ds_read_b128 v[52:55], v210 offset:1872
	s_waitcnt lgkmcnt(1)
	v_mul_f64 v[60:61], v[38:39], v[30:31]
	v_mul_f64 v[38:39], v[38:39], v[28:29]
	;; [unrolled: 1-line block ×3, first 2 shown]
	s_add_i32 s2, s3, s2
	s_waitcnt lgkmcnt(0)
	v_mul_f64 v[56:57], v[22:23], v[54:55]
	v_mul_f64 v[22:23], v[22:23], v[52:53]
	s_mul_i32 s3, s8, 0x270
	v_mov_b32_e32 v62, s2
	v_fma_f64 v[28:29], v[36:37], v[28:29], v[60:61]
	v_fma_f64 v[30:31], v[36:37], v[30:31], -v[38:39]
	ds_read_b128 v[36:39], v210 offset:2496
	v_add_co_u32_e32 v58, vcc, s3, v58
	v_addc_co_u32_e32 v59, vcc, v59, v62, vcc
	global_store_dwordx4 v[58:59], v[48:51], off
	v_mul_f64 v[28:29], v[28:29], s[0:1]
	v_mul_f64 v[30:31], v[30:31], s[0:1]
	v_fma_f64 v[48:49], v[20:21], v[52:53], v[56:57]
	v_fma_f64 v[50:51], v[20:21], v[54:55], -v[22:23]
	ds_read_b128 v[20:23], v210 offset:3120
	s_waitcnt lgkmcnt(1)
	v_mul_f64 v[52:53], v[46:47], v[38:39]
	v_mul_f64 v[46:47], v[46:47], v[36:37]
	v_mov_b32_e32 v60, s2
	v_add_co_u32_e32 v54, vcc, s3, v58
	v_addc_co_u32_e32 v55, vcc, v59, v60, vcc
	global_store_dwordx4 v[54:55], v[28:31], off
	v_fma_f64 v[36:37], v[44:45], v[36:37], v[52:53]
	v_mul_f64 v[28:29], v[48:49], s[0:1]
	v_mul_f64 v[30:31], v[50:51], s[0:1]
	v_fma_f64 v[38:39], v[44:45], v[38:39], -v[46:47]
	s_waitcnt lgkmcnt(0)
	v_mul_f64 v[44:45], v[14:15], v[22:23]
	v_mul_f64 v[14:15], v[14:15], v[20:21]
	v_mov_b32_e32 v48, s2
	v_add_co_u32_e32 v46, vcc, s3, v54
	v_addc_co_u32_e32 v47, vcc, v55, v48, vcc
	global_store_dwordx4 v[46:47], v[28:31], off
	v_fma_f64 v[20:21], v[12:13], v[20:21], v[44:45]
	v_mul_f64 v[28:29], v[36:37], s[0:1]
	v_mul_f64 v[30:31], v[38:39], s[0:1]
	ds_read_b128 v[36:39], v210 offset:3744
	v_fma_f64 v[22:23], v[12:13], v[22:23], -v[14:15]
	ds_read_b128 v[12:15], v210 offset:4368
	v_add_co_u32_e32 v46, vcc, s3, v46
	s_waitcnt lgkmcnt(1)
	v_mul_f64 v[44:45], v[6:7], v[38:39]
	v_mul_f64 v[6:7], v[6:7], v[36:37]
	;; [unrolled: 1-line block ×3, first 2 shown]
	v_addc_co_u32_e32 v47, vcc, v47, v48, vcc
	v_mul_f64 v[22:23], v[22:23], s[0:1]
	global_store_dwordx4 v[46:47], v[28:31], off
	v_fma_f64 v[6:7], v[4:5], v[38:39], -v[6:7]
	v_fma_f64 v[28:29], v[4:5], v[36:37], v[44:45]
	s_waitcnt lgkmcnt(0)
	v_mul_f64 v[30:31], v[42:43], v[14:15]
	v_mul_f64 v[36:37], v[42:43], v[12:13]
	v_add_co_u32_e32 v38, vcc, s3, v46
	v_addc_co_u32_e32 v39, vcc, v47, v48, vcc
	global_store_dwordx4 v[38:39], v[20:23], off
	ds_read_b128 v[20:23], v210 offset:4992
	v_mul_f64 v[4:5], v[28:29], s[0:1]
	v_mul_f64 v[6:7], v[6:7], s[0:1]
	v_fma_f64 v[28:29], v[40:41], v[12:13], v[30:31]
	v_fma_f64 v[30:31], v[40:41], v[14:15], -v[36:37]
	ds_read_b128 v[12:15], v210 offset:5616
	s_waitcnt lgkmcnt(1)
	v_mul_f64 v[36:37], v[10:11], v[22:23]
	v_mul_f64 v[10:11], v[10:11], v[20:21]
	v_mov_b32_e32 v42, s2
	v_add_co_u32_e32 v38, vcc, s3, v38
	v_addc_co_u32_e32 v39, vcc, v39, v42, vcc
	global_store_dwordx4 v[38:39], v[4:7], off
	v_fma_f64 v[20:21], v[8:9], v[20:21], v[36:37]
	v_mul_f64 v[4:5], v[28:29], s[0:1]
	v_mul_f64 v[6:7], v[30:31], s[0:1]
	v_fma_f64 v[8:9], v[8:9], v[22:23], -v[10:11]
	s_waitcnt lgkmcnt(0)
	v_mul_f64 v[22:23], v[34:35], v[14:15]
	v_mul_f64 v[28:29], v[34:35], v[12:13]
	v_mov_b32_e32 v31, s2
	v_add_co_u32_e32 v30, vcc, s3, v38
	v_addc_co_u32_e32 v31, vcc, v39, v31, vcc
	global_store_dwordx4 v[30:31], v[4:7], off
	v_mov_b32_e32 v34, s2
	v_mul_f64 v[6:7], v[8:9], s[0:1]
	ds_read_b128 v[8:11], v210 offset:6240
	v_mul_f64 v[4:5], v[20:21], s[0:1]
	v_fma_f64 v[20:21], v[32:33], v[12:13], v[22:23]
	v_fma_f64 v[22:23], v[32:33], v[14:15], -v[28:29]
	ds_read_b128 v[12:15], v210 offset:6864
	s_waitcnt lgkmcnt(1)
	v_mul_f64 v[28:29], v[2:3], v[10:11]
	v_mul_f64 v[32:33], v[2:3], v[8:9]
	v_add_co_u32_e32 v30, vcc, s3, v30
	v_addc_co_u32_e32 v31, vcc, v31, v34, vcc
	global_store_dwordx4 v[30:31], v[4:7], off
	v_mul_f64 v[2:3], v[20:21], s[0:1]
	v_fma_f64 v[20:21], v[0:1], v[8:9], v[28:29]
	ds_read_b128 v[6:9], v210 offset:7488
	v_mul_f64 v[4:5], v[22:23], s[0:1]
	v_fma_f64 v[10:11], v[0:1], v[10:11], -v[32:33]
	s_waitcnt lgkmcnt(1)
	v_mul_f64 v[28:29], v[18:19], v[14:15]
	v_mul_f64 v[18:19], v[18:19], v[12:13]
	v_mov_b32_e32 v23, s2
	v_add_co_u32_e32 v22, vcc, s3, v30
	v_addc_co_u32_e32 v23, vcc, v31, v23, vcc
	s_waitcnt lgkmcnt(0)
	v_mul_f64 v[30:31], v[26:27], v[8:9]
	v_mul_f64 v[26:27], v[26:27], v[6:7]
	global_store_dwordx4 v[22:23], v[2:5], off
	v_mul_f64 v[0:1], v[20:21], s[0:1]
	v_mul_f64 v[2:3], v[10:11], s[0:1]
	v_fma_f64 v[4:5], v[16:17], v[12:13], v[28:29]
	v_fma_f64 v[10:11], v[16:17], v[14:15], -v[18:19]
	v_mov_b32_e32 v20, s2
	v_fma_f64 v[6:7], v[24:25], v[6:7], v[30:31]
	v_fma_f64 v[8:9], v[24:25], v[8:9], -v[26:27]
	v_add_co_u32_e32 v12, vcc, s3, v22
	v_addc_co_u32_e32 v13, vcc, v23, v20, vcc
	global_store_dwordx4 v[12:13], v[0:3], off
	s_nop 0
	v_mul_f64 v[0:1], v[4:5], s[0:1]
	v_mul_f64 v[2:3], v[10:11], s[0:1]
	;; [unrolled: 1-line block ×4, first 2 shown]
	v_mov_b32_e32 v10, s2
	v_add_co_u32_e32 v8, vcc, s3, v12
	v_addc_co_u32_e32 v9, vcc, v13, v10, vcc
	global_store_dwordx4 v[8:9], v[0:3], off
	s_nop 0
	v_mov_b32_e32 v1, s2
	v_add_co_u32_e32 v0, vcc, s3, v8
	v_addc_co_u32_e32 v1, vcc, v9, v1, vcc
	global_store_dwordx4 v[0:1], v[4:7], off
.LBB0_10:
	s_endpgm
	.section	.rodata,"a",@progbits
	.p2align	6, 0x0
	.amdhsa_kernel bluestein_single_fwd_len507_dim1_dp_op_CI_CI
		.amdhsa_group_segment_fixed_size 24336
		.amdhsa_private_segment_fixed_size 20
		.amdhsa_kernarg_size 104
		.amdhsa_user_sgpr_count 6
		.amdhsa_user_sgpr_private_segment_buffer 1
		.amdhsa_user_sgpr_dispatch_ptr 0
		.amdhsa_user_sgpr_queue_ptr 0
		.amdhsa_user_sgpr_kernarg_segment_ptr 1
		.amdhsa_user_sgpr_dispatch_id 0
		.amdhsa_user_sgpr_flat_scratch_init 0
		.amdhsa_user_sgpr_private_segment_size 0
		.amdhsa_uses_dynamic_stack 0
		.amdhsa_system_sgpr_private_segment_wavefront_offset 1
		.amdhsa_system_sgpr_workgroup_id_x 1
		.amdhsa_system_sgpr_workgroup_id_y 0
		.amdhsa_system_sgpr_workgroup_id_z 0
		.amdhsa_system_sgpr_workgroup_info 0
		.amdhsa_system_vgpr_workitem_id 0
		.amdhsa_next_free_vgpr 256
		.amdhsa_next_free_sgpr 52
		.amdhsa_reserve_vcc 1
		.amdhsa_reserve_flat_scratch 0
		.amdhsa_float_round_mode_32 0
		.amdhsa_float_round_mode_16_64 0
		.amdhsa_float_denorm_mode_32 3
		.amdhsa_float_denorm_mode_16_64 3
		.amdhsa_dx10_clamp 1
		.amdhsa_ieee_mode 1
		.amdhsa_fp16_overflow 0
		.amdhsa_exception_fp_ieee_invalid_op 0
		.amdhsa_exception_fp_denorm_src 0
		.amdhsa_exception_fp_ieee_div_zero 0
		.amdhsa_exception_fp_ieee_overflow 0
		.amdhsa_exception_fp_ieee_underflow 0
		.amdhsa_exception_fp_ieee_inexact 0
		.amdhsa_exception_int_div_zero 0
	.end_amdhsa_kernel
	.text
.Lfunc_end0:
	.size	bluestein_single_fwd_len507_dim1_dp_op_CI_CI, .Lfunc_end0-bluestein_single_fwd_len507_dim1_dp_op_CI_CI
                                        ; -- End function
	.section	.AMDGPU.csdata,"",@progbits
; Kernel info:
; codeLenInByte = 21864
; NumSgprs: 56
; NumVgprs: 256
; ScratchSize: 20
; MemoryBound: 0
; FloatMode: 240
; IeeeMode: 1
; LDSByteSize: 24336 bytes/workgroup (compile time only)
; SGPRBlocks: 6
; VGPRBlocks: 63
; NumSGPRsForWavesPerEU: 56
; NumVGPRsForWavesPerEU: 256
; Occupancy: 1
; WaveLimiterHint : 1
; COMPUTE_PGM_RSRC2:SCRATCH_EN: 1
; COMPUTE_PGM_RSRC2:USER_SGPR: 6
; COMPUTE_PGM_RSRC2:TRAP_HANDLER: 0
; COMPUTE_PGM_RSRC2:TGID_X_EN: 1
; COMPUTE_PGM_RSRC2:TGID_Y_EN: 0
; COMPUTE_PGM_RSRC2:TGID_Z_EN: 0
; COMPUTE_PGM_RSRC2:TIDIG_COMP_CNT: 0
	.type	__hip_cuid_88b949144cabbef7,@object ; @__hip_cuid_88b949144cabbef7
	.section	.bss,"aw",@nobits
	.globl	__hip_cuid_88b949144cabbef7
__hip_cuid_88b949144cabbef7:
	.byte	0                               ; 0x0
	.size	__hip_cuid_88b949144cabbef7, 1

	.ident	"AMD clang version 19.0.0git (https://github.com/RadeonOpenCompute/llvm-project roc-6.4.0 25133 c7fe45cf4b819c5991fe208aaa96edf142730f1d)"
	.section	".note.GNU-stack","",@progbits
	.addrsig
	.addrsig_sym __hip_cuid_88b949144cabbef7
	.amdgpu_metadata
---
amdhsa.kernels:
  - .args:
      - .actual_access:  read_only
        .address_space:  global
        .offset:         0
        .size:           8
        .value_kind:     global_buffer
      - .actual_access:  read_only
        .address_space:  global
        .offset:         8
        .size:           8
        .value_kind:     global_buffer
      - .actual_access:  read_only
        .address_space:  global
        .offset:         16
        .size:           8
        .value_kind:     global_buffer
      - .actual_access:  read_only
        .address_space:  global
        .offset:         24
        .size:           8
        .value_kind:     global_buffer
      - .actual_access:  read_only
        .address_space:  global
        .offset:         32
        .size:           8
        .value_kind:     global_buffer
      - .offset:         40
        .size:           8
        .value_kind:     by_value
      - .address_space:  global
        .offset:         48
        .size:           8
        .value_kind:     global_buffer
      - .address_space:  global
        .offset:         56
        .size:           8
        .value_kind:     global_buffer
      - .address_space:  global
        .offset:         64
        .size:           8
        .value_kind:     global_buffer
      - .address_space:  global
        .offset:         72
        .size:           8
        .value_kind:     global_buffer
      - .offset:         80
        .size:           4
        .value_kind:     by_value
      - .address_space:  global
        .offset:         88
        .size:           8
        .value_kind:     global_buffer
      - .address_space:  global
        .offset:         96
        .size:           8
        .value_kind:     global_buffer
    .group_segment_fixed_size: 24336
    .kernarg_segment_align: 8
    .kernarg_segment_size: 104
    .language:       OpenCL C
    .language_version:
      - 2
      - 0
    .max_flat_workgroup_size: 117
    .name:           bluestein_single_fwd_len507_dim1_dp_op_CI_CI
    .private_segment_fixed_size: 20
    .sgpr_count:     56
    .sgpr_spill_count: 0
    .symbol:         bluestein_single_fwd_len507_dim1_dp_op_CI_CI.kd
    .uniform_work_group_size: 1
    .uses_dynamic_stack: false
    .vgpr_count:     256
    .vgpr_spill_count: 4
    .wavefront_size: 64
amdhsa.target:   amdgcn-amd-amdhsa--gfx906
amdhsa.version:
  - 1
  - 2
...

	.end_amdgpu_metadata
